;; amdgpu-corpus repo=ROCm/rocFFT kind=compiled arch=gfx1030 opt=O3
	.text
	.amdgcn_target "amdgcn-amd-amdhsa--gfx1030"
	.amdhsa_code_object_version 6
	.protected	bluestein_single_fwd_len1936_dim1_half_op_CI_CI ; -- Begin function bluestein_single_fwd_len1936_dim1_half_op_CI_CI
	.globl	bluestein_single_fwd_len1936_dim1_half_op_CI_CI
	.p2align	8
	.type	bluestein_single_fwd_len1936_dim1_half_op_CI_CI,@function
bluestein_single_fwd_len1936_dim1_half_op_CI_CI: ; @bluestein_single_fwd_len1936_dim1_half_op_CI_CI
; %bb.0:
	s_load_dwordx4 s[8:11], s[4:5], 0x28
	v_mul_u32_u24_e32 v1, 0x175, v0
	v_mov_b32_e32 v24, 0
	s_mov_b32 s0, exec_lo
	v_lshrrev_b32_e32 v1, 16, v1
	v_add_nc_u32_e32 v23, s6, v1
	s_waitcnt lgkmcnt(0)
	v_cmpx_gt_u64_e64 s[8:9], v[23:24]
	s_cbranch_execz .LBB0_31
; %bb.1:
	s_load_dwordx4 s[0:3], s[4:5], 0x18
	v_mul_lo_u16 v1, 0xb0, v1
	s_waitcnt lgkmcnt(0)
	s_load_dwordx4 s[12:15], s[0:1], 0x0
	s_load_dwordx2 s[0:1], s[4:5], 0x0
	v_sub_nc_u16 v9, v0, v1
	v_and_b32_e32 v44, 0xffff, v9
	v_lshlrev_b32_e32 v36, 2, v44
	s_waitcnt lgkmcnt(0)
	s_clause 0x2
	global_load_dword v47, v36, s[0:1]
	global_load_dword v45, v36, s[0:1] offset:704
	global_load_dword v41, v36, s[0:1] offset:1408
	v_mad_u64_u32 v[0:1], null, s14, v23, 0
	v_mad_u64_u32 v[2:3], null, s12, v44, 0
	v_add_co_u32 v31, s6, s0, v36
	v_add_co_ci_u32_e64 v30, null, s1, 0, s6
	s_mul_i32 s1, s13, 0x3c8
	v_add_co_u32 v19, vcc_lo, 0x800, v31
	v_mad_u64_u32 v[4:5], null, s15, v23, v[1:2]
	v_add_co_ci_u32_e32 v20, vcc_lo, 0, v30, vcc_lo
	v_add_co_u32 v5, vcc_lo, 0x1000, v31
	v_add_co_ci_u32_e32 v6, vcc_lo, 0, v30, vcc_lo
	v_mad_u64_u32 v[7:8], null, s13, v44, v[3:4]
	v_mov_b32_e32 v1, v4
	s_mul_hi_u32 s7, s12, 0x3c8
	s_mul_i32 s0, s12, 0x3c8
	s_mul_hi_u32 s9, s12, 0xfffffce8
	s_add_i32 s1, s7, s1
	v_lshlrev_b64 v[0:1], 2, v[0:1]
	v_mov_b32_e32 v3, v7
	s_mul_i32 s8, s13, 0xfffffce8
	s_mul_i32 s6, s12, 0xfffffce8
	s_sub_i32 s7, s9, s12
	s_lshl_b64 s[12:13], s[0:1], 2
	v_lshlrev_b64 v[2:3], 2, v[2:3]
	v_add_co_u32 v0, vcc_lo, s10, v0
	v_add_co_ci_u32_e32 v1, vcc_lo, s11, v1, vcc_lo
	s_add_i32 s7, s7, s8
	v_add_co_u32 v0, vcc_lo, v0, v2
	v_add_co_ci_u32_e32 v1, vcc_lo, v1, v3, vcc_lo
	s_lshl_b64 s[0:1], s[6:7], 2
	v_add_co_u32 v2, vcc_lo, v0, s12
	v_add_co_ci_u32_e32 v3, vcc_lo, s13, v1, vcc_lo
	global_load_dword v4, v[0:1], off
	global_load_dword v46, v[19:20], off offset:1824
	v_add_nc_u32_e32 v15, 0x1100, v36
	global_load_dword v7, v[2:3], off
	v_add_co_u32 v0, vcc_lo, v2, s0
	v_add_co_ci_u32_e32 v1, vcc_lo, s1, v3, vcc_lo
	v_add_co_u32 v2, vcc_lo, v0, s12
	v_add_co_ci_u32_e32 v3, vcc_lo, s13, v1, vcc_lo
	global_load_dword v8, v[0:1], off
	v_add_co_u32 v0, vcc_lo, v2, s0
	v_add_co_ci_u32_e32 v1, vcc_lo, s1, v3, vcc_lo
	v_add_co_u32 v21, vcc_lo, 0x1800, v31
	v_add_co_ci_u32_e32 v22, vcc_lo, 0, v30, vcc_lo
	global_load_dword v10, v[2:3], off
	s_clause 0x1
	global_load_dword v43, v[5:6], off offset:480
	global_load_dword v42, v[5:6], off offset:1184
	global_load_dword v11, v[0:1], off
	v_add_co_u32 v0, vcc_lo, v0, s12
	v_add_co_ci_u32_e32 v1, vcc_lo, s13, v1, vcc_lo
	global_load_dword v40, v[19:20], off offset:64
	v_add_co_u32 v2, vcc_lo, v0, s0
	v_add_co_ci_u32_e32 v3, vcc_lo, s1, v1, vcc_lo
	global_load_dword v12, v[0:1], off
	v_add_co_u32 v0, vcc_lo, v2, s12
	v_add_co_ci_u32_e32 v1, vcc_lo, s13, v3, vcc_lo
	global_load_dword v13, v[2:3], off
	v_add_co_u32 v2, vcc_lo, v0, s0
	v_add_co_ci_u32_e32 v3, vcc_lo, s1, v1, vcc_lo
	global_load_dword v14, v[0:1], off
	v_add_co_u32 v0, vcc_lo, v2, s12
	v_add_co_ci_u32_e32 v1, vcc_lo, s13, v3, vcc_lo
	global_load_dword v39, v[5:6], off offset:1888
	global_load_dword v3, v[2:3], off
	global_load_dword v5, v[0:1], off
	s_clause 0x1
	global_load_dword v37, v[21:22], off offset:544
	global_load_dword v38, v[19:20], off offset:768
	s_load_dwordx2 s[6:7], s[4:5], 0x38
	s_load_dwordx4 s[8:11], s[2:3], 0x0
	v_add_nc_u32_e32 v2, 0x500, v36
	v_cmp_gt_u16_e32 vcc_lo, 0x58, v9
	s_waitcnt vmcnt(16)
	v_lshrrev_b32_e32 v6, 16, v4
	v_mul_f16_sdwa v16, v47, v4 dst_sel:DWORD dst_unused:UNUSED_PAD src0_sel:WORD_1 src1_sel:DWORD
	s_waitcnt vmcnt(14)
	v_lshrrev_b32_e32 v18, 16, v7
	v_mul_f16_sdwa v24, v46, v7 dst_sel:DWORD dst_unused:UNUSED_PAD src0_sel:WORD_1 src1_sel:DWORD
	v_mul_f16_sdwa v17, v47, v6 dst_sel:DWORD dst_unused:UNUSED_PAD src0_sel:WORD_1 src1_sel:DWORD
	v_fma_f16 v6, v47, v6, -v16
	v_fmac_f16_e32 v17, v47, v4
	v_mul_f16_sdwa v4, v46, v18 dst_sel:DWORD dst_unused:UNUSED_PAD src0_sel:WORD_1 src1_sel:DWORD
	v_fma_f16 v18, v46, v18, -v24
	s_waitcnt vmcnt(13)
	v_lshrrev_b32_e32 v16, 16, v8
	v_mul_f16_sdwa v24, v45, v8 dst_sel:DWORD dst_unused:UNUSED_PAD src0_sel:WORD_1 src1_sel:DWORD
	v_pack_b32_f16 v6, v17, v6
	v_fmac_f16_e32 v4, v46, v7
	v_mul_f16_sdwa v7, v45, v16 dst_sel:DWORD dst_unused:UNUSED_PAD src0_sel:WORD_1 src1_sel:DWORD
	s_waitcnt vmcnt(12)
	v_lshrrev_b32_e32 v17, 16, v10
	v_fma_f16 v16, v45, v16, -v24
	v_pack_b32_f16 v4, v4, v18
	s_waitcnt vmcnt(9)
	v_lshrrev_b32_e32 v18, 16, v11
	v_fmac_f16_e32 v7, v45, v8
	v_mul_f16_sdwa v25, v43, v10 dst_sel:DWORD dst_unused:UNUSED_PAD src0_sel:WORD_1 src1_sel:DWORD
	v_mul_f16_sdwa v8, v43, v17 dst_sel:DWORD dst_unused:UNUSED_PAD src0_sel:WORD_1 src1_sel:DWORD
	;; [unrolled: 1-line block ×3, first 2 shown]
	ds_write_b32 v36, v4 offset:3872
	v_pack_b32_f16 v4, v7, v16
	v_mul_f16_sdwa v7, v41, v18 dst_sel:DWORD dst_unused:UNUSED_PAD src0_sel:WORD_1 src1_sel:DWORD
	v_fma_f16 v17, v43, v17, -v25
	v_fmac_f16_e32 v8, v43, v10
	v_fma_f16 v10, v41, v18, -v24
	s_waitcnt vmcnt(7)
	v_lshrrev_b32_e32 v16, 16, v12
	v_mul_f16_sdwa v18, v42, v12 dst_sel:DWORD dst_unused:UNUSED_PAD src0_sel:WORD_1 src1_sel:DWORD
	ds_write2_b32 v36, v6, v4 offset1:176
	v_fmac_f16_e32 v7, v41, v11
	s_waitcnt vmcnt(6)
	v_lshrrev_b32_e32 v6, 16, v13
	v_pack_b32_f16 v4, v8, v17
	v_mul_f16_sdwa v8, v42, v16 dst_sel:DWORD dst_unused:UNUSED_PAD src0_sel:WORD_1 src1_sel:DWORD
	v_fma_f16 v11, v42, v16, -v18
	v_mul_f16_sdwa v16, v40, v13 dst_sel:DWORD dst_unused:UNUSED_PAD src0_sel:WORD_1 src1_sel:DWORD
	v_pack_b32_f16 v7, v7, v10
	v_mul_f16_sdwa v10, v40, v6 dst_sel:DWORD dst_unused:UNUSED_PAD src0_sel:WORD_1 src1_sel:DWORD
	v_fmac_f16_e32 v8, v42, v12
	s_waitcnt vmcnt(5)
	v_lshrrev_b32_e32 v12, 16, v14
	v_fma_f16 v6, v40, v6, -v16
	s_waitcnt vmcnt(4)
	v_mul_f16_sdwa v16, v39, v14 dst_sel:DWORD dst_unused:UNUSED_PAD src0_sel:WORD_1 src1_sel:DWORD
	v_fmac_f16_e32 v10, v40, v13
	s_waitcnt vmcnt(3)
	v_lshrrev_b32_e32 v13, 16, v3
	s_waitcnt vmcnt(2)
	v_lshrrev_b32_e32 v18, 16, v5
	v_mul_f16_sdwa v17, v39, v12 dst_sel:DWORD dst_unused:UNUSED_PAD src0_sel:WORD_1 src1_sel:DWORD
	v_fma_f16 v12, v39, v12, -v16
	s_waitcnt vmcnt(0)
	v_mul_f16_sdwa v16, v38, v3 dst_sel:DWORD dst_unused:UNUSED_PAD src0_sel:WORD_1 src1_sel:DWORD
	v_mul_f16_sdwa v24, v38, v13 dst_sel:DWORD dst_unused:UNUSED_PAD src0_sel:WORD_1 src1_sel:DWORD
	;; [unrolled: 1-line block ×4, first 2 shown]
	v_fmac_f16_e32 v17, v39, v14
	v_fma_f16 v13, v38, v13, -v16
	v_fmac_f16_e32 v24, v38, v3
	v_fma_f16 v3, v37, v18, -v25
	v_fmac_f16_e32 v26, v37, v5
	v_pack_b32_f16 v5, v8, v11
	v_pack_b32_f16 v6, v10, v6
	;; [unrolled: 1-line block ×5, first 2 shown]
	v_add_nc_u32_e32 v11, 0x1700, v36
	ds_write2_b32 v15, v4, v5 offset0:56 offset1:232
	ds_write2_b32 v2, v7, v6 offset0:32 offset1:208
	ds_write_b32 v36, v10 offset:2816
	ds_write2_b32 v11, v8, v3 offset0:24 offset1:200
	s_and_saveexec_b32 s2, vcc_lo
	s_cbranch_execz .LBB0_3
; %bb.2:
	v_add_co_u32 v0, s0, v0, s0
	v_add_co_ci_u32_e64 v1, s0, s1, v1, s0
	v_add_co_u32 v3, s0, v0, s12
	v_add_co_ci_u32_e64 v4, s0, s13, v1, s0
	global_load_dword v0, v[0:1], off
	global_load_dword v1, v[3:4], off
	s_clause 0x1
	global_load_dword v3, v[19:20], off offset:1472
	global_load_dword v4, v[21:22], off offset:1248
	s_waitcnt vmcnt(3)
	v_lshrrev_b32_e32 v5, 16, v0
	s_waitcnt vmcnt(2)
	v_lshrrev_b32_e32 v6, 16, v1
	s_waitcnt vmcnt(1)
	v_mul_f16_sdwa v7, v3, v0 dst_sel:DWORD dst_unused:UNUSED_PAD src0_sel:WORD_1 src1_sel:DWORD
	s_waitcnt vmcnt(0)
	v_mul_f16_sdwa v10, v4, v1 dst_sel:DWORD dst_unused:UNUSED_PAD src0_sel:WORD_1 src1_sel:DWORD
	v_mul_f16_sdwa v8, v3, v5 dst_sel:DWORD dst_unused:UNUSED_PAD src0_sel:WORD_1 src1_sel:DWORD
	;; [unrolled: 1-line block ×3, first 2 shown]
	v_fma_f16 v5, v3, v5, -v7
	v_fmac_f16_e32 v8, v3, v0
	v_fmac_f16_e32 v9, v4, v1
	v_fma_f16 v0, v4, v6, -v10
	v_pack_b32_f16 v1, v8, v5
	v_pack_b32_f16 v0, v9, v0
	ds_write_b32 v36, v1 offset:3520
	ds_write_b32 v36, v0 offset:7392
.LBB0_3:
	s_or_b32 exec_lo, exec_lo, s2
	v_add_nc_u32_e32 v0, 0xe00, v36
	v_add_nc_u32_e32 v1, 0x1400, v36
	s_waitcnt lgkmcnt(0)
	s_barrier
	buffer_gl0_inv
	ds_read2_b32 v[4:5], v36 offset1:176
	ds_read2_b32 v[6:7], v0 offset0:72 offset1:248
	ds_read2_b32 v[2:3], v2 offset0:32 offset1:208
	ds_read2_b32 v[8:9], v1 offset0:40 offset1:216
	ds_read_b32 v16, v36 offset:2816
	ds_read_b32 v0, v36 offset:6688
                                        ; implicit-def: $vgpr14
                                        ; implicit-def: $vgpr1
	s_and_saveexec_b32 s0, vcc_lo
	s_cbranch_execz .LBB0_5
; %bb.4:
	ds_read_b32 v14, v36 offset:3520
	ds_read_b32 v1, v36 offset:7392
.LBB0_5:
	s_or_b32 exec_lo, exec_lo, s0
	s_load_dwordx2 s[2:3], s[4:5], 0x8
	v_lshlrev_b32_e32 v12, 1, v44
	s_waitcnt lgkmcnt(0)
	v_pk_add_f16 v8, v2, v8 neg_lo:[0,1] neg_hi:[0,1]
	v_add_co_u32 v11, null, 0xb0, v44
	v_add_co_u32 v10, null, 0x160, v44
	;; [unrolled: 1-line block ×3, first 2 shown]
	v_pk_add_f16 v18, v4, v6 neg_lo:[0,1] neg_hi:[0,1]
	v_pk_add_f16 v1, v14, v1 neg_lo:[0,1] neg_hi:[0,1]
	;; [unrolled: 1-line block ×5, first 2 shown]
	v_pk_fma_f16 v7, v2, 2.0, v8 op_sel_hi:[1,0,1] neg_lo:[0,0,1] neg_hi:[0,0,1]
	v_lshlrev_b32_e32 v2, 2, v12
	v_pk_fma_f16 v0, v14, 2.0, v1 op_sel_hi:[1,0,1] neg_lo:[0,0,1] neg_hi:[0,0,1]
	v_lshlrev_b32_e32 v51, 3, v44
	;; [unrolled: 2-line block ×3, first 2 shown]
	v_lshlrev_b32_e32 v52, 3, v11
	v_lshlrev_b32_e32 v15, 1, v10
	;; [unrolled: 1-line block ×3, first 2 shown]
	v_add_nc_u32_e32 v62, 0x420, v12
	v_add_nc_u32_e32 v63, 0x580, v12
	v_lshlrev_b32_e32 v55, 3, v13
	v_pk_fma_f16 v5, v5, 2.0, v6 op_sel_hi:[1,0,1] neg_lo:[0,0,1] neg_hi:[0,0,1]
	v_pk_fma_f16 v24, v3, 2.0, v25 op_sel_hi:[1,0,1] neg_lo:[0,0,1] neg_hi:[0,0,1]
	;; [unrolled: 1-line block ×3, first 2 shown]
	v_add_nc_u32_e32 v2, 0x1000, v2
	s_barrier
	buffer_gl0_inv
	ds_write_b64 v51, v[17:18]
	ds_write_b64 v52, v[5:6]
	;; [unrolled: 1-line block ×3, first 2 shown]
	ds_write2_b64 v2, v[24:25], v[26:27] offset0:16 offset1:192
	s_and_saveexec_b32 s0, vcc_lo
	s_cbranch_execz .LBB0_7
; %bb.6:
	ds_write_b64 v55, v[0:1]
.LBB0_7:
	s_or_b32 exec_lo, exec_lo, s0
	v_add_nc_u32_e32 v2, 0xe00, v36
	v_add_nc_u32_e32 v3, 0x500, v36
	v_add_nc_u32_e32 v6, 0x1400, v36
	s_waitcnt lgkmcnt(0)
	s_barrier
	buffer_gl0_inv
	ds_read2_b32 v[4:5], v36 offset1:176
	ds_read2_b32 v[8:9], v2 offset0:72 offset1:248
	ds_read2_b32 v[2:3], v3 offset0:32 offset1:208
	;; [unrolled: 1-line block ×3, first 2 shown]
	ds_read_b32 v16, v36 offset:2816
	ds_read_b32 v17, v36 offset:6688
	s_and_saveexec_b32 s0, vcc_lo
	s_cbranch_execz .LBB0_9
; %bb.8:
	ds_read_b32 v0, v36 offset:3520
	ds_read_b32 v1, v36 offset:7392
.LBB0_9:
	s_or_b32 exec_lo, exec_lo, s0
	v_and_b32_e32 v48, 1, v44
	s_waitcnt lgkmcnt(4)
	v_lshrrev_b32_e32 v24, 16, v8
	v_lshlrev_b32_e32 v53, 1, v13
	v_lshrrev_b32_e32 v26, 16, v9
	s_waitcnt lgkmcnt(2)
	v_lshrrev_b32_e32 v28, 16, v6
	v_lshlrev_b32_e32 v18, 2, v48
	v_and_or_b32 v12, 0x1fc, v12, v48
	v_and_or_b32 v13, 0x3fc, v14, v48
	;; [unrolled: 1-line block ×4, first 2 shown]
	global_load_dword v50, v18, s[2:3]
	v_lshrrev_b32_e32 v32, 16, v7
	s_waitcnt lgkmcnt(0)
	v_lshrrev_b32_e32 v34, 16, v17
	v_lshrrev_b32_e32 v35, 16, v1
	v_lshlrev_b32_e32 v56, 2, v12
	v_lshlrev_b32_e32 v57, 2, v13
	;; [unrolled: 1-line block ×4, first 2 shown]
	v_lshrrev_b32_e32 v18, 16, v4
	v_lshrrev_b32_e32 v25, 16, v5
	;; [unrolled: 1-line block ×6, first 2 shown]
	v_and_or_b32 v60, 0x7fc, v63, v48
	s_waitcnt vmcnt(0)
	s_barrier
	buffer_gl0_inv
	v_lshlrev_b32_e32 v60, 2, v60
	v_mul_f16_sdwa v12, v24, v50 dst_sel:DWORD dst_unused:UNUSED_PAD src0_sel:DWORD src1_sel:WORD_1
	v_mul_f16_sdwa v13, v8, v50 dst_sel:DWORD dst_unused:UNUSED_PAD src0_sel:DWORD src1_sel:WORD_1
	v_mul_f16_sdwa v14, v26, v50 dst_sel:DWORD dst_unused:UNUSED_PAD src0_sel:DWORD src1_sel:WORD_1
	v_mul_f16_sdwa v15, v9, v50 dst_sel:DWORD dst_unused:UNUSED_PAD src0_sel:DWORD src1_sel:WORD_1
	v_mul_f16_sdwa v61, v28, v50 dst_sel:DWORD dst_unused:UNUSED_PAD src0_sel:DWORD src1_sel:WORD_1
	v_mul_f16_sdwa v64, v6, v50 dst_sel:DWORD dst_unused:UNUSED_PAD src0_sel:DWORD src1_sel:WORD_1
	v_mul_f16_sdwa v65, v32, v50 dst_sel:DWORD dst_unused:UNUSED_PAD src0_sel:DWORD src1_sel:WORD_1
	v_mul_f16_sdwa v66, v7, v50 dst_sel:DWORD dst_unused:UNUSED_PAD src0_sel:DWORD src1_sel:WORD_1
	v_mul_f16_sdwa v67, v34, v50 dst_sel:DWORD dst_unused:UNUSED_PAD src0_sel:DWORD src1_sel:WORD_1
	v_mul_f16_sdwa v68, v17, v50 dst_sel:DWORD dst_unused:UNUSED_PAD src0_sel:DWORD src1_sel:WORD_1
	v_mul_f16_sdwa v69, v35, v50 dst_sel:DWORD dst_unused:UNUSED_PAD src0_sel:DWORD src1_sel:WORD_1
	v_mul_f16_sdwa v70, v1, v50 dst_sel:DWORD dst_unused:UNUSED_PAD src0_sel:DWORD src1_sel:WORD_1
	v_fma_f16 v8, v8, v50, -v12
	v_fmac_f16_e32 v13, v24, v50
	v_fma_f16 v9, v9, v50, -v14
	v_fmac_f16_e32 v15, v26, v50
	;; [unrolled: 2-line block ×6, first 2 shown]
	v_sub_f16_e32 v17, v4, v8
	v_sub_f16_e32 v26, v18, v13
	;; [unrolled: 1-line block ×12, first 2 shown]
	v_fma_f16 v1, v4, 2.0, -v17
	v_fma_f16 v4, v18, 2.0, -v26
	;; [unrolled: 1-line block ×12, first 2 shown]
	v_pack_b32_f16 v0, v17, v26
	v_pack_b32_f16 v1, v1, v4
	;; [unrolled: 1-line block ×10, first 2 shown]
	ds_write2_b32 v56, v1, v0 offset1:2
	ds_write2_b32 v57, v4, v16 offset1:2
	;; [unrolled: 1-line block ×5, first 2 shown]
	s_and_saveexec_b32 s0, vcc_lo
	s_cbranch_execz .LBB0_11
; %bb.10:
	v_and_or_b32 v0, 0x7fc, v53, v48
	v_perm_b32 v1, v25, v24, 0x5040100
	v_perm_b32 v2, v15, v13, 0x5040100
	v_lshlrev_b32_e32 v0, 2, v0
	ds_write2_b32 v0, v1, v2 offset1:2
.LBB0_11:
	s_or_b32 exec_lo, exec_lo, s0
	v_add_nc_u32_e32 v2, 0x700, v36
	v_add_nc_u32_e32 v3, 0xe00, v36
	;; [unrolled: 1-line block ×3, first 2 shown]
	s_waitcnt lgkmcnt(0)
	s_barrier
	buffer_gl0_inv
	ds_read2_b32 v[0:1], v36 offset1:176
	ds_read2_b32 v[6:7], v2 offset0:36 offset1:212
	ds_read2_b32 v[4:5], v3 offset0:72 offset1:248
	;; [unrolled: 1-line block ×3, first 2 shown]
	v_cmp_gt_u16_e64 s0, 0x84, v44
	s_and_saveexec_b32 s1, s0
	s_cbranch_execz .LBB0_13
; %bb.12:
	ds_read_b32 v8, v36 offset:1408
	ds_read_b32 v12, v36 offset:3344
	;; [unrolled: 1-line block ×4, first 2 shown]
	s_waitcnt lgkmcnt(3)
	v_lshrrev_b32_e32 v9, 16, v8
	s_waitcnt lgkmcnt(2)
	v_lshrrev_b32_e32 v14, 16, v12
	;; [unrolled: 2-line block ×4, first 2 shown]
.LBB0_13:
	s_or_b32 exec_lo, exec_lo, s1
	v_and_b32_e32 v49, 3, v44
	v_lshlrev_b32_e32 v11, 2, v11
	s_waitcnt lgkmcnt(2)
	v_lshrrev_b32_e32 v27, 16, v6
	s_waitcnt lgkmcnt(1)
	v_lshrrev_b32_e32 v28, 16, v4
	;; [unrolled: 2-line block ×3, first 2 shown]
	v_mad_u64_u32 v[16:17], null, v49, 12, s[2:3]
	v_and_or_b32 v34, 0x3f0, v36, v49
	v_and_or_b32 v11, 0x7f0, v11, v49
	v_lshrrev_b32_e32 v33, 16, v7
	v_lshrrev_b32_e32 v35, 16, v5
	;; [unrolled: 1-line block ×3, first 2 shown]
	v_lshlrev_b32_e32 v65, 2, v34
	global_load_dwordx3 v[16:18], v[16:17], off offset:8
	v_lshlrev_b32_e32 v64, 2, v11
	v_lshrrev_b32_e32 v26, 16, v0
	v_lshlrev_b32_e32 v61, 2, v10
	v_lshrrev_b32_e32 v32, 16, v1
	s_waitcnt vmcnt(0)
	s_barrier
	buffer_gl0_inv
	v_mul_f16_sdwa v11, v27, v16 dst_sel:DWORD dst_unused:UNUSED_PAD src0_sel:DWORD src1_sel:WORD_1
	v_mul_f16_sdwa v34, v6, v16 dst_sel:DWORD dst_unused:UNUSED_PAD src0_sel:DWORD src1_sel:WORD_1
	;; [unrolled: 1-line block ×18, first 2 shown]
	v_fma_f16 v11, v6, v16, -v11
	v_fmac_f16_e32 v34, v27, v16
	v_fma_f16 v4, v4, v17, -v67
	v_fmac_f16_e32 v68, v28, v17
	;; [unrolled: 2-line block ×9, first 2 shown]
	v_sub_f16_e32 v14, v0, v4
	v_sub_f16_e32 v15, v26, v68
	;; [unrolled: 1-line block ×10, first 2 shown]
	v_fma_f16 v0, v0, 2.0, -v14
	v_fma_f16 v12, v26, 2.0, -v15
	;; [unrolled: 1-line block ×8, first 2 shown]
	v_sub_f16_e32 v25, v14, v25
	v_add_f16_e32 v24, v15, v24
	v_sub_f16_e32 v11, v0, v11
	v_sub_f16_e32 v13, v12, v13
	;; [unrolled: 1-line block ×3, first 2 shown]
	v_add_f16_e32 v29, v28, v29
	v_sub_f16_e32 v7, v1, v7
	v_sub_f16_e32 v32, v26, v32
	;; [unrolled: 1-line block ×4, first 2 shown]
	v_fma_f16 v14, v14, 2.0, -v25
	v_fma_f16 v15, v15, 2.0, -v24
	;; [unrolled: 1-line block ×8, first 2 shown]
	v_sub_f16_e32 v67, v3, v5
	v_pack_b32_f16 v24, v25, v24
	v_pack_b32_f16 v11, v11, v13
	v_add_f16_e32 v68, v4, v6
	v_pack_b32_f16 v14, v14, v15
	v_pack_b32_f16 v0, v0, v12
	;; [unrolled: 1-line block ×6, first 2 shown]
	ds_write2_b32 v65, v11, v24 offset0:8 offset1:12
	ds_write2_b32 v65, v0, v14 offset1:4
	ds_write2_b32 v64, v1, v13 offset1:4
	ds_write2_b32 v64, v7, v25 offset0:8 offset1:12
	s_and_saveexec_b32 s1, s0
	s_cbranch_execz .LBB0_15
; %bb.14:
	v_fma_f16 v0, v8, 2.0, -v3
	v_fma_f16 v1, v2, 2.0, -v6
	;; [unrolled: 1-line block ×6, first 2 shown]
	v_sub_f16_e32 v1, v0, v1
	v_and_or_b32 v6, 0xff0, v61, v49
	v_sub_f16_e32 v5, v2, v5
	v_perm_b32 v7, v68, v67, 0x5040100
	v_pack_b32_f16 v3, v3, v4
	v_fma_f16 v0, v0, 2.0, -v1
	v_lshlrev_b32_e32 v6, 2, v6
	v_fma_f16 v2, v2, 2.0, -v5
	v_pack_b32_f16 v1, v1, v5
	v_pack_b32_f16 v0, v0, v2
	ds_write2_b32 v6, v0, v3 offset1:4
	ds_write2_b32 v6, v1, v7 offset0:8 offset1:12
.LBB0_15:
	s_or_b32 exec_lo, exec_lo, s1
	v_and_b32_e32 v15, 15, v44
	s_waitcnt lgkmcnt(0)
	s_barrier
	buffer_gl0_inv
	v_add_nc_u32_e32 v32, 0x500, v36
	v_mad_u64_u32 v[8:9], null, v15, 40, s[2:3]
	v_add_nc_u32_e32 v33, 0xa00, v36
	v_add_nc_u32_e32 v34, 0x1000, v36
	;; [unrolled: 1-line block ×3, first 2 shown]
	v_lshrrev_b32_e32 v66, 4, v44
	v_mad_u64_u32 v[69:70], null, v44, 40, s[2:3]
	s_clause 0x2
	global_load_dwordx4 v[4:7], v[8:9], off offset:56
	global_load_dwordx4 v[0:3], v[8:9], off offset:72
	global_load_dwordx2 v[24:25], v[8:9], off offset:88
	ds_read2_b32 v[8:9], v36 offset1:176
	ds_read_b32 v12, v36 offset:7040
	ds_read2_b32 v[10:11], v32 offset0:32 offset1:208
	ds_read2_b32 v[13:14], v33 offset0:64 offset1:240
	;; [unrolled: 1-line block ×3, first 2 shown]
	ds_read2_b32 v[28:29], v35 offset1:176
	v_mul_u32_u24_e32 v66, 0xb0, v66
	s_waitcnt vmcnt(0) lgkmcnt(0)
	s_barrier
	buffer_gl0_inv
	v_or_b32_e32 v15, v66, v15
	v_lshlrev_b32_e32 v66, 2, v15
	v_lshrrev_b32_e32 v15, 16, v9
	v_lshrrev_b32_e32 v71, 16, v12
	;; [unrolled: 1-line block ×10, first 2 shown]
	v_mul_f16_sdwa v80, v15, v4 dst_sel:DWORD dst_unused:UNUSED_PAD src0_sel:DWORD src1_sel:WORD_1
	v_mul_f16_sdwa v81, v9, v4 dst_sel:DWORD dst_unused:UNUSED_PAD src0_sel:DWORD src1_sel:WORD_1
	;; [unrolled: 1-line block ×10, first 2 shown]
	v_fma_f16 v9, v9, v4, -v80
	v_fmac_f16_e32 v81, v15, v4
	v_mul_f16_sdwa v84, v73, v6 dst_sel:DWORD dst_unused:UNUSED_PAD src0_sel:DWORD src1_sel:WORD_1
	v_mul_f16_sdwa v85, v11, v6 dst_sel:DWORD dst_unused:UNUSED_PAD src0_sel:DWORD src1_sel:WORD_1
	;; [unrolled: 1-line block ×10, first 2 shown]
	v_fma_f16 v10, v10, v5, -v82
	v_fmac_f16_e32 v83, v72, v5
	v_fma_f16 v15, v26, v1, -v90
	v_fma_f16 v26, v27, v2, -v92
	;; [unrolled: 1-line block ×5, first 2 shown]
	v_fmac_f16_e32 v99, v71, v25
	v_add_f16_e32 v29, v8, v9
	v_add_f16_sdwa v71, v8, v81 dst_sel:DWORD dst_unused:UNUSED_PAD src0_sel:WORD_1 src1_sel:DWORD
	v_fma_f16 v11, v11, v6, -v84
	v_fmac_f16_e32 v85, v73, v6
	v_fma_f16 v13, v13, v7, -v86
	v_fmac_f16_e32 v87, v74, v7
	;; [unrolled: 2-line block ×3, first 2 shown]
	v_fmac_f16_e32 v91, v76, v1
	v_fmac_f16_e32 v93, v77, v2
	;; [unrolled: 1-line block ×4, first 2 shown]
	v_add_f16_e32 v72, v9, v12
	v_sub_f16_e32 v9, v9, v12
	v_sub_f16_e32 v74, v81, v99
	v_add_f16_e32 v75, v10, v28
	v_sub_f16_e32 v77, v10, v28
	v_add_f16_e32 v10, v29, v10
	v_add_f16_e32 v29, v71, v83
	;; [unrolled: 1-line block ×4, first 2 shown]
	v_sub_f16_e32 v78, v83, v97
	v_add_f16_e32 v79, v11, v27
	v_sub_f16_e32 v81, v11, v27
	v_sub_f16_e32 v82, v85, v95
	;; [unrolled: 1-line block ×6, first 2 shown]
	v_mul_f16_e32 v71, 0xb853, v74
	v_mul_f16_e32 v83, 0xb853, v9
	;; [unrolled: 1-line block ×10, first 2 shown]
	v_add_f16_e32 v10, v10, v11
	v_add_f16_e32 v11, v29, v85
	;; [unrolled: 1-line block ×7, first 2 shown]
	v_mul_f16_e32 v106, 0xbb47, v78
	v_mul_f16_e32 v107, 0xbb47, v77
	;; [unrolled: 1-line block ×40, first 2 shown]
	v_fma_f16 v29, v72, 0x3abb, -v71
	v_fmamk_f16 v85, v73, 0x3abb, v83
	v_fmac_f16_e32 v71, 0x3abb, v72
	v_fma_f16 v83, v73, 0x3abb, -v83
	v_fma_f16 v138, v72, 0x36a6, -v100
	v_fmamk_f16 v139, v73, 0x36a6, v101
	v_fmac_f16_e32 v100, 0x36a6, v72
	v_fma_f16 v101, v73, 0x36a6, -v101
	;; [unrolled: 4-line block ×5, first 2 shown]
	v_add_f16_e32 v10, v10, v13
	v_add_f16_e32 v11, v11, v87
	v_fma_f16 v72, v75, 0x36a6, -v106
	v_fmamk_f16 v73, v76, 0x36a6, v107
	v_fmac_f16_e32 v106, 0x36a6, v75
	v_fma_f16 v107, v76, 0x36a6, -v107
	v_fma_f16 v146, v75, 0xb93d, -v108
	v_fmamk_f16 v147, v76, 0xb93d, v109
	v_fmac_f16_e32 v108, 0xb93d, v75
	v_fma_f16 v109, v76, 0xb93d, -v109
	;; [unrolled: 4-line block ×5, first 2 shown]
	v_fma_f16 v76, v79, 0xb08e, -v114
	v_fmac_f16_e32 v114, 0xb08e, v79
	v_fma_f16 v77, v79, 0xbbad, -v116
	v_fmac_f16_e32 v116, 0xbbad, v79
	v_fma_f16 v154, v79, 0x36a6, -v118
	v_fmac_f16_e32 v118, 0x36a6, v79
	v_fma_f16 v155, v79, 0x3abb, -v119
	v_fmac_f16_e32 v119, 0x3abb, v79
	v_fma_f16 v156, v79, 0xb93d, -v82
	v_fmac_f16_e32 v82, 0xb93d, v79
	v_fmamk_f16 v79, v80, 0xb08e, v115
	v_fma_f16 v115, v80, 0xb08e, -v115
	v_fmamk_f16 v157, v80, 0xbbad, v117
	v_fma_f16 v117, v80, 0xbbad, -v117
	v_fmamk_f16 v158, v80, 0x36a6, v120
	v_fma_f16 v120, v80, 0x36a6, -v120
	v_fmamk_f16 v159, v80, 0x3abb, v121
	v_fma_f16 v121, v80, 0x3abb, -v121
	v_fmamk_f16 v160, v80, 0xb93d, v81
	v_fma_f16 v80, v80, 0xb93d, -v81
	v_fma_f16 v81, v86, 0xb93d, -v122
	v_fmac_f16_e32 v122, 0xb93d, v86
	v_fma_f16 v161, v86, 0xb08e, -v123
	v_fmac_f16_e32 v123, 0xb08e, v86
	v_fma_f16 v162, v86, 0x3abb, -v124
	v_fmac_f16_e32 v124, 0x3abb, v86
	v_fma_f16 v163, v86, 0xbbad, -v125
	v_fmac_f16_e32 v125, 0xbbad, v86
	v_fma_f16 v164, v86, 0x36a6, -v84
	v_fmac_f16_e32 v84, 0x36a6, v86
	v_fmamk_f16 v86, v90, 0xb93d, v126
	v_fma_f16 v126, v90, 0xb93d, -v126
	v_fmamk_f16 v165, v90, 0xb08e, v127
	v_fma_f16 v127, v90, 0xb08e, -v127
	v_fmamk_f16 v166, v90, 0x3abb, v128
	v_fma_f16 v128, v90, 0x3abb, -v128
	v_fmamk_f16 v167, v90, 0xbbad, v129
	v_fma_f16 v129, v90, 0xbbad, -v129
	v_fmamk_f16 v168, v90, 0x36a6, v88
	v_fma_f16 v88, v90, 0x36a6, -v88
	;; [unrolled: 20-line block ×3, first 2 shown]
	v_add_f16_e32 v29, v8, v29
	v_add_f16_sdwa v85, v8, v85 dst_sel:DWORD dst_unused:UNUSED_PAD src0_sel:WORD_1 src1_sel:DWORD
	v_add_f16_e32 v71, v8, v71
	v_add_f16_sdwa v83, v8, v83 dst_sel:DWORD dst_unused:UNUSED_PAD src0_sel:WORD_1 src1_sel:DWORD
	;; [unrolled: 2-line block ×10, first 2 shown]
	v_add_f16_e32 v9, v10, v14
	v_add_f16_e32 v10, v11, v89
	;; [unrolled: 1-line block ×92, first 2 shown]
	v_pack_b32_f16 v11, v11, v14
	v_pack_b32_f16 v14, v27, v29
	;; [unrolled: 1-line block ×11, first 2 shown]
	ds_write2_b32 v66, v14, v27 offset0:32 offset1:48
	ds_write2_b32 v66, v28, v13 offset0:64 offset1:80
	;; [unrolled: 1-line block ×4, first 2 shown]
	ds_write_b32 v66, v15 offset:640
	ds_write2_b32 v66, v9, v11 offset1:16
	s_waitcnt lgkmcnt(0)
	s_barrier
	buffer_gl0_inv
	s_clause 0x2
	global_load_dwordx4 v[12:15], v[69:70], off offset:696
	global_load_dwordx4 v[8:11], v[69:70], off offset:712
	global_load_dwordx2 v[26:27], v[69:70], off offset:728
	ds_read2_b32 v[28:29], v36 offset1:176
	ds_read2_b32 v[79:80], v32 offset0:32 offset1:208
	ds_read2_b32 v[84:85], v33 offset0:64 offset1:240
	;; [unrolled: 1-line block ×3, first 2 shown]
	ds_read2_b32 v[88:89], v35 offset1:176
	ds_read_b32 v90, v36 offset:7040
	s_waitcnt lgkmcnt(5)
	v_lshrrev_b32_e32 v72, 16, v29
	s_waitcnt lgkmcnt(4)
	v_lshrrev_b32_e32 v74, 16, v79
	v_lshrrev_b32_e32 v76, 16, v80
	s_waitcnt lgkmcnt(2)
	v_lshrrev_b32_e32 v93, 16, v86
	;; [unrolled: 3-line block ×3, first 2 shown]
	s_waitcnt lgkmcnt(0)
	v_lshrrev_b32_e32 v97, 16, v90
	v_lshrrev_b32_e32 v91, 16, v84
	;; [unrolled: 1-line block ×4, first 2 shown]
	s_waitcnt vmcnt(2)
	v_mul_f16_sdwa v81, v72, v12 dst_sel:DWORD dst_unused:UNUSED_PAD src0_sel:DWORD src1_sel:WORD_1
	v_mul_f16_sdwa v98, v29, v12 dst_sel:DWORD dst_unused:UNUSED_PAD src0_sel:DWORD src1_sel:WORD_1
	;; [unrolled: 1-line block ×5, first 2 shown]
	s_waitcnt vmcnt(1)
	v_mul_f16_sdwa v103, v93, v9 dst_sel:DWORD dst_unused:UNUSED_PAD src0_sel:DWORD src1_sel:WORD_1
	v_mul_f16_sdwa v104, v94, v10 dst_sel:DWORD dst_unused:UNUSED_PAD src0_sel:DWORD src1_sel:WORD_1
	v_fma_f16 v108, v29, v12, -v81
	v_fmac_f16_e32 v98, v72, v12
	v_mul_f16_sdwa v100, v76, v14 dst_sel:DWORD dst_unused:UNUSED_PAD src0_sel:DWORD src1_sel:WORD_1
	v_mul_f16_sdwa v75, v86, v9 dst_sel:DWORD dst_unused:UNUSED_PAD src0_sel:DWORD src1_sel:WORD_1
	;; [unrolled: 1-line block ×5, first 2 shown]
	s_waitcnt vmcnt(0)
	v_mul_f16_sdwa v107, v97, v27 dst_sel:DWORD dst_unused:UNUSED_PAD src0_sel:DWORD src1_sel:WORD_1
	v_mul_f16_sdwa v69, v90, v27 dst_sel:DWORD dst_unused:UNUSED_PAD src0_sel:DWORD src1_sel:WORD_1
	v_fma_f16 v109, v79, v13, -v83
	v_fmac_f16_e32 v99, v74, v13
	v_fmac_f16_e32 v82, v76, v14
	v_fma_f16 v79, v86, v9, -v103
	v_fma_f16 v76, v87, v10, -v104
	v_add_f16_e32 v86, v28, v108
	v_add_f16_sdwa v87, v28, v98 dst_sel:DWORD dst_unused:UNUSED_PAD src0_sel:WORD_1 src1_sel:DWORD
	v_mul_f16_sdwa v101, v91, v15 dst_sel:DWORD dst_unused:UNUSED_PAD src0_sel:DWORD src1_sel:WORD_1
	v_mul_f16_sdwa v78, v84, v15 dst_sel:DWORD dst_unused:UNUSED_PAD src0_sel:DWORD src1_sel:WORD_1
	;; [unrolled: 1-line block ×6, first 2 shown]
	v_fma_f16 v83, v80, v14, -v100
	v_fma_f16 v74, v88, v11, -v105
	v_fmac_f16_e32 v71, v95, v11
	v_fma_f16 v29, v90, v27, -v107
	v_fmac_f16_e32 v69, v97, v27
	v_add_f16_e32 v86, v86, v109
	v_add_f16_e32 v87, v87, v99
	v_fma_f16 v81, v84, v15, -v101
	v_fmac_f16_e32 v78, v91, v15
	v_fma_f16 v80, v85, v8, -v102
	v_fmac_f16_e32 v77, v92, v8
	v_fmac_f16_e32 v75, v93, v9
	;; [unrolled: 1-line block ×3, first 2 shown]
	v_fma_f16 v72, v89, v26, -v106
	v_fmac_f16_e32 v70, v96, v26
	v_sub_f16_e32 v88, v108, v29
	v_sub_f16_e32 v89, v98, v69
	v_sub_f16_e32 v94, v82, v71
	v_add_f16_e32 v95, v83, v74
	v_sub_f16_e32 v96, v83, v74
	v_add_f16_e32 v97, v82, v71
	v_add_f16_e32 v83, v86, v83
	;; [unrolled: 1-line block ×6, first 2 shown]
	v_sub_f16_e32 v92, v109, v72
	v_sub_f16_e32 v93, v99, v70
	;; [unrolled: 1-line block ×3, first 2 shown]
	v_add_f16_e32 v100, v81, v76
	v_sub_f16_e32 v101, v81, v76
	v_add_f16_e32 v102, v78, v73
	v_sub_f16_e32 v103, v77, v75
	v_sub_f16_e32 v105, v80, v79
	v_mul_f16_e32 v99, 0xb853, v89
	v_mul_f16_e32 v107, 0xb853, v88
	v_add_f16_e32 v81, v83, v81
	v_add_f16_e32 v78, v82, v78
	;; [unrolled: 1-line block ×3, first 2 shown]
	v_mul_f16_e32 v108, 0xbb47, v89
	v_mul_f16_e32 v109, 0xbb47, v88
	;; [unrolled: 1-line block ×8, first 2 shown]
	v_add_f16_e32 v104, v80, v79
	v_add_f16_e32 v106, v77, v75
	v_mul_f16_e32 v114, 0xbb47, v93
	v_mul_f16_e32 v115, 0xbb47, v92
	;; [unrolled: 1-line block ×40, first 2 shown]
	v_fma_f16 v146, v84, 0x3abb, -v99
	v_fmamk_f16 v147, v85, 0x3abb, v107
	v_add_f16_e32 v80, v81, v80
	v_add_f16_e32 v77, v78, v77
	v_fmac_f16_e32 v99, 0x3abb, v84
	v_fma_f16 v107, v85, 0x3abb, -v107
	v_fma_f16 v148, v84, 0x36a6, -v108
	v_fmamk_f16 v149, v85, 0x36a6, v109
	v_fmac_f16_e32 v108, 0x36a6, v84
	v_fma_f16 v109, v85, 0x36a6, -v109
	v_fma_f16 v150, v84, 0xb08e, -v110
	v_fmamk_f16 v151, v85, 0xb08e, v111
	v_fmac_f16_e32 v110, 0xb08e, v84
	v_fma_f16 v111, v85, 0xb08e, -v111
	v_fma_f16 v152, v84, 0xb93d, -v112
	v_fmamk_f16 v153, v85, 0xb93d, v113
	v_fmac_f16_e32 v112, 0xb93d, v84
	v_fma_f16 v154, v84, 0xbbad, -v89
	v_fmamk_f16 v155, v85, 0xbbad, v88
	v_fma_f16 v113, v85, 0xb93d, -v113
	v_fmac_f16_e32 v89, 0xbbad, v84
	v_fma_f16 v84, v85, 0xbbad, -v88
	v_fma_f16 v85, v90, 0x36a6, -v114
	v_fmamk_f16 v88, v91, 0x36a6, v115
	v_fmac_f16_e32 v114, 0x36a6, v90
	v_fma_f16 v115, v91, 0x36a6, -v115
	v_fma_f16 v156, v90, 0xb93d, -v116
	v_fmamk_f16 v157, v91, 0xb93d, v117
	;; [unrolled: 4-line block ×4, first 2 shown]
	v_fmac_f16_e32 v120, 0xb08e, v90
	v_fma_f16 v121, v91, 0xb08e, -v121
	v_fma_f16 v162, v90, 0x3abb, -v93
	v_fmac_f16_e32 v93, 0x3abb, v90
	v_fmamk_f16 v90, v91, 0x3abb, v92
	v_fma_f16 v91, v91, 0x3abb, -v92
	v_fma_f16 v92, v95, 0xb08e, -v122
	v_fmac_f16_e32 v122, 0xb08e, v95
	v_fma_f16 v163, v95, 0xbbad, -v123
	v_fmac_f16_e32 v123, 0xbbad, v95
	v_fma_f16 v164, v95, 0x36a6, -v124
	v_fmac_f16_e32 v124, 0x36a6, v95
	v_fma_f16 v165, v95, 0x3abb, -v125
	v_fmac_f16_e32 v125, 0x3abb, v95
	v_fma_f16 v166, v95, 0xb93d, -v94
	v_fmac_f16_e32 v94, 0xb93d, v95
	v_fmamk_f16 v86, v97, 0xb08e, v126
	v_fma_f16 v87, v97, 0xb08e, -v126
	v_fmamk_f16 v95, v97, 0xbbad, v127
	v_fma_f16 v126, v97, 0xbbad, -v127
	v_fmamk_f16 v127, v97, 0x36a6, v128
	v_fma_f16 v128, v97, 0x36a6, -v128
	v_fmamk_f16 v167, v97, 0x3abb, v129
	v_fma_f16 v129, v97, 0x3abb, -v129
	v_fmamk_f16 v168, v97, 0xb93d, v96
	v_fma_f16 v96, v97, 0xb93d, -v96
	v_fma_f16 v97, v100, 0xb93d, -v130
	v_fmac_f16_e32 v130, 0xb93d, v100
	v_fma_f16 v169, v100, 0xb08e, -v131
	v_fmac_f16_e32 v131, 0xb08e, v100
	v_fma_f16 v170, v100, 0x3abb, -v132
	v_fmac_f16_e32 v132, 0x3abb, v100
	v_fma_f16 v171, v100, 0xbbad, -v133
	v_fmac_f16_e32 v133, 0xbbad, v100
	v_fma_f16 v172, v100, 0x36a6, -v98
	v_fmac_f16_e32 v98, 0x36a6, v100
	v_fmamk_f16 v100, v102, 0xb93d, v134
	v_fma_f16 v134, v102, 0xb93d, -v134
	v_fmamk_f16 v173, v102, 0xb08e, v135
	v_fma_f16 v135, v102, 0xb08e, -v135
	v_fmamk_f16 v174, v102, 0x3abb, v136
	v_fma_f16 v136, v102, 0x3abb, -v136
	v_fmamk_f16 v175, v102, 0xbbad, v137
	v_fma_f16 v137, v102, 0xbbad, -v137
	;; [unrolled: 20-line block ×3, first 2 shown]
	v_fmamk_f16 v184, v106, 0xb08e, v105
	v_fma_f16 v105, v106, 0xb08e, -v105
	v_add_f16_e32 v106, v28, v146
	v_add_f16_sdwa v146, v28, v147 dst_sel:DWORD dst_unused:UNUSED_PAD src0_sel:WORD_1 src1_sel:DWORD
	v_add_f16_e32 v79, v80, v79
	v_add_f16_e32 v75, v77, v75
	;; [unrolled: 1-line block ×3, first 2 shown]
	v_add_f16_sdwa v107, v28, v107 dst_sel:DWORD dst_unused:UNUSED_PAD src0_sel:WORD_1 src1_sel:DWORD
	v_add_f16_e32 v147, v28, v148
	v_add_f16_sdwa v148, v28, v149 dst_sel:DWORD dst_unused:UNUSED_PAD src0_sel:WORD_1 src1_sel:DWORD
	v_add_f16_e32 v108, v28, v108
	;; [unrolled: 2-line block ×6, first 2 shown]
	v_add_f16_e32 v153, v28, v154
	v_add_f16_sdwa v82, v28, v155 dst_sel:DWORD dst_unused:UNUSED_PAD src0_sel:WORD_1 src1_sel:DWORD
	v_add_f16_sdwa v113, v28, v113 dst_sel:DWORD dst_unused:UNUSED_PAD src0_sel:WORD_1 src1_sel:DWORD
	v_add_f16_e32 v83, v28, v89
	v_add_f16_sdwa v28, v28, v84 dst_sel:DWORD dst_unused:UNUSED_PAD src0_sel:WORD_1 src1_sel:DWORD
	v_add_f16_e32 v78, v85, v106
	v_add_f16_e32 v81, v88, v146
	;; [unrolled: 1-line block ×88, first 2 shown]
	v_pack_b32_f16 v74, v75, v77
	v_pack_b32_f16 v29, v29, v69
	;; [unrolled: 1-line block ×11, first 2 shown]
	ds_write2_b32 v36, v29, v74 offset1:176
	ds_write2_b32 v32, v75, v70 offset0:32 offset1:208
	ds_write2_b32 v33, v72, v76 offset0:64 offset1:240
	;; [unrolled: 1-line block ×3, first 2 shown]
	ds_write2_b32 v35, v77, v78 offset1:176
	ds_write_b32 v36, v79 offset:7040
	s_waitcnt lgkmcnt(0)
	s_barrier
	buffer_gl0_inv
	global_load_dword v35, v[21:22], off offset:1600
	v_add_co_u32 v28, s1, 0x1e40, v31
	v_add_co_ci_u32_e64 v29, s1, 0, v30, s1
	v_add_co_u32 v33, s1, 0x2800, v31
	v_add_co_ci_u32_e64 v34, s1, 0, v30, s1
	global_load_dword v72, v[28:29], off offset:704
	v_add_co_u32 v69, s1, 0x3800, v31
	v_add_co_ci_u32_e64 v70, s1, 0, v30, s1
	s_clause 0x1
	global_load_dword v78, v[33:34], off offset:320
	global_load_dword v79, v[69:70], off offset:96
	v_add_co_u32 v69, s1, 0x3000, v31
	v_add_co_ci_u32_e64 v70, s1, 0, v30, s1
	v_add_co_u32 v74, s1, 0x2000, v31
	v_add_co_ci_u32_e64 v75, s1, 0, v30, s1
	s_clause 0x5
	global_load_dword v80, v[33:34], off offset:1376
	global_load_dword v81, v[69:70], off offset:32
	;; [unrolled: 1-line block ×6, first 2 shown]
	ds_read2_b32 v[30:31], v36 offset1:176
	ds_read_b32 v85, v36 offset:2816
	ds_read_b32 v86, v36 offset:6688
	v_add_nc_u32_e32 v87, 0x200, v36
	s_waitcnt lgkmcnt(2)
	v_lshrrev_b32_e32 v33, 16, v30
	v_lshrrev_b32_e32 v88, 16, v31
	s_waitcnt lgkmcnt(0)
	v_lshrrev_b32_e32 v89, 16, v86
	s_waitcnt vmcnt(9)
	v_mul_f16_sdwa v34, v33, v35 dst_sel:DWORD dst_unused:UNUSED_PAD src0_sel:DWORD src1_sel:WORD_1
	v_mul_f16_sdwa v69, v30, v35 dst_sel:DWORD dst_unused:UNUSED_PAD src0_sel:DWORD src1_sel:WORD_1
	v_fma_f16 v30, v30, v35, -v34
	v_fmac_f16_e32 v69, v33, v35
	v_add_nc_u32_e32 v33, 0xe00, v36
	s_waitcnt vmcnt(8)
	v_mul_f16_sdwa v90, v88, v72 dst_sel:DWORD dst_unused:UNUSED_PAD src0_sel:DWORD src1_sel:WORD_1
	v_mul_f16_sdwa v91, v31, v72 dst_sel:DWORD dst_unused:UNUSED_PAD src0_sel:DWORD src1_sel:WORD_1
	v_pack_b32_f16 v30, v30, v69
	v_add_nc_u32_e32 v69, 0x1400, v36
	v_fma_f16 v31, v31, v72, -v90
	s_waitcnt vmcnt(7)
	v_mul_f16_sdwa v93, v85, v78 dst_sel:DWORD dst_unused:UNUSED_PAD src0_sel:DWORD src1_sel:WORD_1
	ds_write_b32 v36, v30
	ds_read2_b32 v[34:35], v33 offset0:72 offset1:248
	ds_read2_b32 v[74:75], v32 offset0:32 offset1:208
	;; [unrolled: 1-line block ×3, first 2 shown]
	v_lshrrev_b32_e32 v30, 16, v85
	s_waitcnt vmcnt(6)
	v_mul_f16_sdwa v94, v89, v79 dst_sel:DWORD dst_unused:UNUSED_PAD src0_sel:DWORD src1_sel:WORD_1
	v_mul_f16_sdwa v95, v86, v79 dst_sel:DWORD dst_unused:UNUSED_PAD src0_sel:DWORD src1_sel:WORD_1
	v_fmac_f16_e32 v91, v88, v72
	v_mul_f16_sdwa v92, v30, v78 dst_sel:DWORD dst_unused:UNUSED_PAD src0_sel:DWORD src1_sel:WORD_1
	v_fmac_f16_e32 v93, v30, v78
	v_fmac_f16_e32 v95, v89, v79
	v_pack_b32_f16 v31, v31, v91
	v_add_nc_u32_e32 v30, 0x800, v36
	v_fma_f16 v72, v85, v78, -v92
	v_fma_f16 v78, v86, v79, -v94
	v_pack_b32_f16 v72, v72, v93
	s_waitcnt lgkmcnt(2)
	v_lshrrev_b32_e32 v79, 16, v34
	s_waitcnt vmcnt(5)
	v_mul_f16_sdwa v85, v34, v80 dst_sel:DWORD dst_unused:UNUSED_PAD src0_sel:DWORD src1_sel:WORD_1
	v_lshrrev_b32_e32 v86, 16, v35
	s_waitcnt vmcnt(4)
	v_mul_f16_sdwa v88, v35, v81 dst_sel:DWORD dst_unused:UNUSED_PAD src0_sel:DWORD src1_sel:WORD_1
	s_waitcnt lgkmcnt(1)
	v_lshrrev_b32_e32 v89, 16, v74
	s_waitcnt vmcnt(1)
	v_mul_f16_sdwa v90, v74, v83 dst_sel:DWORD dst_unused:UNUSED_PAD src0_sel:DWORD src1_sel:WORD_1
	s_waitcnt lgkmcnt(0)
	v_lshrrev_b32_e32 v91, 16, v76
	v_mul_f16_sdwa v92, v76, v82 dst_sel:DWORD dst_unused:UNUSED_PAD src0_sel:DWORD src1_sel:WORD_1
	v_lshrrev_b32_e32 v93, 16, v75
	s_waitcnt vmcnt(0)
	v_mul_f16_sdwa v94, v75, v84 dst_sel:DWORD dst_unused:UNUSED_PAD src0_sel:DWORD src1_sel:WORD_1
	v_lshrrev_b32_e32 v96, 16, v77
	v_mul_f16_sdwa v98, v79, v80 dst_sel:DWORD dst_unused:UNUSED_PAD src0_sel:DWORD src1_sel:WORD_1
	v_fmac_f16_e32 v85, v79, v80
	v_mul_f16_sdwa v79, v86, v81 dst_sel:DWORD dst_unused:UNUSED_PAD src0_sel:DWORD src1_sel:WORD_1
	v_fmac_f16_e32 v88, v86, v81
	v_mul_f16_sdwa v86, v89, v83 dst_sel:DWORD dst_unused:UNUSED_PAD src0_sel:DWORD src1_sel:WORD_1
	v_mul_f16_sdwa v97, v77, v70 dst_sel:DWORD dst_unused:UNUSED_PAD src0_sel:DWORD src1_sel:WORD_1
	v_fmac_f16_e32 v90, v89, v83
	v_mul_f16_sdwa v89, v91, v82 dst_sel:DWORD dst_unused:UNUSED_PAD src0_sel:DWORD src1_sel:WORD_1
	v_fmac_f16_e32 v92, v91, v82
	;; [unrolled: 2-line block ×3, first 2 shown]
	v_mul_f16_sdwa v93, v96, v70 dst_sel:DWORD dst_unused:UNUSED_PAD src0_sel:DWORD src1_sel:WORD_1
	v_fma_f16 v34, v34, v80, -v98
	v_fma_f16 v35, v35, v81, -v79
	;; [unrolled: 1-line block ×3, first 2 shown]
	v_fmac_f16_e32 v97, v96, v70
	v_fma_f16 v76, v76, v82, -v89
	v_fma_f16 v70, v77, v70, -v93
	;; [unrolled: 1-line block ×3, first 2 shown]
	v_pack_b32_f16 v34, v34, v85
	v_pack_b32_f16 v35, v35, v88
	;; [unrolled: 1-line block ×7, first 2 shown]
	ds_write2_b32 v33, v34, v35 offset0:72 offset1:248
	ds_write2_b32 v87, v31, v74 offset0:48 offset1:224
	;; [unrolled: 1-line block ×4, first 2 shown]
	ds_write_b32 v36, v77 offset:6688
	s_and_saveexec_b32 s2, vcc_lo
	s_cbranch_execz .LBB0_17
; %bb.16:
	v_add_co_u32 v30, s1, 0x800, v28
	v_add_co_ci_u32_e64 v31, s1, 0, v29, s1
	v_add_co_u32 v28, s1, 0x1800, v28
	v_add_co_ci_u32_e64 v29, s1, 0, v29, s1
	s_clause 0x1
	global_load_dword v30, v[30:31], off offset:1472
	global_load_dword v28, v[28:29], off offset:1248
	ds_read_b32 v29, v36 offset:3520
	ds_read_b32 v31, v36 offset:7392
	s_waitcnt lgkmcnt(1)
	v_lshrrev_b32_e32 v34, 16, v29
	s_waitcnt lgkmcnt(0)
	v_lshrrev_b32_e32 v35, 16, v31
	s_waitcnt vmcnt(1)
	v_mul_f16_sdwa v70, v34, v30 dst_sel:DWORD dst_unused:UNUSED_PAD src0_sel:DWORD src1_sel:WORD_1
	v_mul_f16_sdwa v72, v29, v30 dst_sel:DWORD dst_unused:UNUSED_PAD src0_sel:DWORD src1_sel:WORD_1
	s_waitcnt vmcnt(0)
	v_mul_f16_sdwa v74, v35, v28 dst_sel:DWORD dst_unused:UNUSED_PAD src0_sel:DWORD src1_sel:WORD_1
	v_mul_f16_sdwa v75, v31, v28 dst_sel:DWORD dst_unused:UNUSED_PAD src0_sel:DWORD src1_sel:WORD_1
	v_fma_f16 v29, v29, v30, -v70
	v_fmac_f16_e32 v72, v34, v30
	v_fma_f16 v30, v31, v28, -v74
	v_fmac_f16_e32 v75, v35, v28
	v_pack_b32_f16 v28, v29, v72
	v_pack_b32_f16 v29, v30, v75
	ds_write_b32 v36, v28 offset:3520
	ds_write_b32 v36, v29 offset:7392
.LBB0_17:
	s_or_b32 exec_lo, exec_lo, s2
	s_waitcnt lgkmcnt(0)
	s_barrier
	buffer_gl0_inv
	ds_read2_b32 v[30:31], v36 offset1:176
	ds_read2_b32 v[34:35], v33 offset0:72 offset1:248
	ds_read2_b32 v[28:29], v32 offset0:32 offset1:208
	;; [unrolled: 1-line block ×3, first 2 shown]
	ds_read_b32 v72, v36 offset:2816
	ds_read_b32 v74, v36 offset:6688
	v_lshlrev_b32_e32 v70, 2, v62
	v_lshlrev_b32_e32 v69, 2, v63
	s_and_saveexec_b32 s1, vcc_lo
	s_cbranch_execz .LBB0_19
; %bb.18:
	ds_read_b32 v71, v36 offset:3520
	ds_read_b32 v67, v36 offset:7392
	s_waitcnt lgkmcnt(1)
	v_lshrrev_b32_e32 v73, 16, v71
	s_waitcnt lgkmcnt(0)
	v_lshrrev_b32_e32 v68, 16, v67
.LBB0_19:
	s_or_b32 exec_lo, exec_lo, s1
	s_waitcnt lgkmcnt(4)
	v_pk_add_f16 v34, v30, v34 neg_lo:[0,1] neg_hi:[0,1]
	v_sub_f16_e32 v62, v71, v67
	v_sub_f16_e32 v68, v73, v68
	v_pk_add_f16 v75, v31, v35 neg_lo:[0,1] neg_hi:[0,1]
	s_waitcnt lgkmcnt(2)
	v_pk_add_f16 v32, v28, v32 neg_lo:[0,1] neg_hi:[0,1]
	v_pk_add_f16 v77, v29, v33 neg_lo:[0,1] neg_hi:[0,1]
	s_waitcnt lgkmcnt(0)
	v_pk_add_f16 v79, v72, v74 neg_lo:[0,1] neg_hi:[0,1]
	v_fma_f16 v63, v71, 2.0, -v62
	v_fma_f16 v67, v73, 2.0, -v68
	v_pk_fma_f16 v33, v30, 2.0, v34 op_sel_hi:[1,0,1] neg_lo:[0,0,1] neg_hi:[0,0,1]
	v_pk_fma_f16 v74, v31, 2.0, v75 op_sel_hi:[1,0,1] neg_lo:[0,0,1] neg_hi:[0,0,1]
	;; [unrolled: 1-line block ×5, first 2 shown]
	s_barrier
	buffer_gl0_inv
	ds_write_b64 v51, v[33:34]
	ds_write_b64 v52, v[74:75]
	;; [unrolled: 1-line block ×5, first 2 shown]
	s_and_saveexec_b32 s1, vcc_lo
	s_cbranch_execz .LBB0_21
; %bb.20:
	v_perm_b32 v29, v68, v62, 0x5040100
	v_perm_b32 v28, v67, v63, 0x5040100
	ds_write_b64 v55, v[28:29]
.LBB0_21:
	s_or_b32 exec_lo, exec_lo, s1
	v_add_nc_u32_e32 v28, 0xe00, v36
	v_add_nc_u32_e32 v29, 0x500, v36
	;; [unrolled: 1-line block ×3, first 2 shown]
	s_waitcnt lgkmcnt(0)
	s_barrier
	buffer_gl0_inv
	ds_read2_b32 v[30:31], v36 offset1:176
	ds_read2_b32 v[34:35], v28 offset0:72 offset1:248
	ds_read2_b32 v[28:29], v29 offset0:32 offset1:208
	;; [unrolled: 1-line block ×3, first 2 shown]
	ds_read_b32 v52, v36 offset:2816
	ds_read_b32 v51, v36 offset:6688
	s_and_saveexec_b32 s1, vcc_lo
	s_cbranch_execz .LBB0_23
; %bb.22:
	ds_read_b32 v63, v36 offset:3520
	ds_read_b32 v62, v36 offset:7392
	s_waitcnt lgkmcnt(1)
	v_lshrrev_b32_e32 v67, 16, v63
	s_waitcnt lgkmcnt(0)
	v_lshrrev_b32_e32 v68, 16, v62
.LBB0_23:
	s_or_b32 exec_lo, exec_lo, s1
	s_waitcnt lgkmcnt(4)
	v_lshrrev_b32_e32 v70, 16, v35
	v_lshrrev_b32_e32 v55, 16, v34
	s_waitcnt lgkmcnt(2)
	v_lshrrev_b32_e32 v72, 16, v32
	v_mul_f16_sdwa v77, v50, v34 dst_sel:DWORD dst_unused:UNUSED_PAD src0_sel:WORD_1 src1_sel:DWORD
	v_mul_f16_sdwa v80, v50, v35 dst_sel:DWORD dst_unused:UNUSED_PAD src0_sel:WORD_1 src1_sel:DWORD
	;; [unrolled: 1-line block ×4, first 2 shown]
	v_lshrrev_b32_e32 v74, 16, v33
	s_waitcnt lgkmcnt(0)
	v_lshrrev_b32_e32 v79, 16, v51
	v_lshrrev_b32_e32 v54, 16, v30
	v_fmac_f16_e32 v78, v50, v35
	v_mul_f16_sdwa v35, v50, v72 dst_sel:DWORD dst_unused:UNUSED_PAD src0_sel:WORD_1 src1_sel:DWORD
	v_fmac_f16_e32 v76, v50, v34
	v_fma_f16 v34, v50, v55, -v77
	v_fma_f16 v55, v50, v70, -v80
	v_mul_f16_sdwa v70, v50, v32 dst_sel:DWORD dst_unused:UNUSED_PAD src0_sel:WORD_1 src1_sel:DWORD
	v_mul_f16_sdwa v77, v50, v74 dst_sel:DWORD dst_unused:UNUSED_PAD src0_sel:WORD_1 src1_sel:DWORD
	;; [unrolled: 1-line block ×3, first 2 shown]
	v_fmac_f16_e32 v35, v50, v32
	v_mul_f16_sdwa v32, v50, v79 dst_sel:DWORD dst_unused:UNUSED_PAD src0_sel:WORD_1 src1_sel:DWORD
	v_fma_f16 v70, v50, v72, -v70
	v_mul_f16_sdwa v72, v50, v51 dst_sel:DWORD dst_unused:UNUSED_PAD src0_sel:WORD_1 src1_sel:DWORD
	v_fmac_f16_e32 v77, v50, v33
	v_fma_f16 v33, v50, v74, -v80
	v_fmac_f16_e32 v32, v50, v51
	v_mul_f16_sdwa v74, v50, v68 dst_sel:DWORD dst_unused:UNUSED_PAD src0_sel:WORD_1 src1_sel:DWORD
	v_mul_f16_sdwa v51, v50, v62 dst_sel:DWORD dst_unused:UNUSED_PAD src0_sel:WORD_1 src1_sel:DWORD
	v_lshrrev_b32_e32 v69, 16, v31
	v_lshrrev_b32_e32 v71, 16, v28
	;; [unrolled: 1-line block ×4, first 2 shown]
	v_fma_f16 v72, v50, v79, -v72
	v_sub_f16_e32 v76, v30, v76
	v_sub_f16_e32 v34, v54, v34
	v_fmac_f16_e32 v74, v50, v62
	v_fma_f16 v50, v50, v68, -v51
	v_sub_f16_e32 v68, v31, v78
	v_sub_f16_e32 v79, v69, v55
	;; [unrolled: 1-line block ×8, first 2 shown]
	v_fma_f16 v30, v30, 2.0, -v76
	v_fma_f16 v78, v54, 2.0, -v34
	v_sub_f16_e32 v54, v63, v74
	v_sub_f16_e32 v62, v67, v50
	v_fma_f16 v31, v31, 2.0, -v68
	v_fma_f16 v69, v69, 2.0, -v79
	;; [unrolled: 1-line block ×10, first 2 shown]
	v_pack_b32_f16 v30, v30, v78
	v_pack_b32_f16 v34, v76, v34
	;; [unrolled: 1-line block ×10, first 2 shown]
	s_barrier
	buffer_gl0_inv
	ds_write2_b32 v56, v30, v34 offset1:2
	ds_write2_b32 v57, v31, v68 offset1:2
	;; [unrolled: 1-line block ×5, first 2 shown]
	s_and_saveexec_b32 s1, vcc_lo
	s_cbranch_execz .LBB0_25
; %bb.24:
	v_and_or_b32 v28, 0x7fc, v53, v48
	v_perm_b32 v29, v67, v63, 0x5040100
	v_perm_b32 v30, v62, v54, 0x5040100
	v_lshlrev_b32_e32 v28, 2, v28
	ds_write2_b32 v28, v29, v30 offset1:2
.LBB0_25:
	s_or_b32 exec_lo, exec_lo, s1
	v_add_nc_u32_e32 v30, 0x700, v36
	v_add_nc_u32_e32 v31, 0xe00, v36
	;; [unrolled: 1-line block ×3, first 2 shown]
	s_waitcnt lgkmcnt(0)
	s_barrier
	buffer_gl0_inv
	ds_read2_b32 v[28:29], v36 offset1:176
	ds_read2_b32 v[34:35], v30 offset0:36 offset1:212
	ds_read2_b32 v[32:33], v31 offset0:72 offset1:248
	;; [unrolled: 1-line block ×3, first 2 shown]
	s_and_saveexec_b32 s1, s0
	s_cbranch_execz .LBB0_27
; %bb.26:
	ds_read_b32 v50, v36 offset:1408
	ds_read_b32 v51, v36 offset:3344
	;; [unrolled: 1-line block ×4, first 2 shown]
	s_waitcnt lgkmcnt(3)
	v_lshrrev_b32_e32 v52, 16, v50
	s_waitcnt lgkmcnt(2)
	v_lshrrev_b32_e32 v55, 16, v51
	;; [unrolled: 2-line block ×4, first 2 shown]
.LBB0_27:
	s_or_b32 exec_lo, exec_lo, s1
	s_waitcnt lgkmcnt(1)
	v_lshrrev_b32_e32 v56, 16, v32
	v_lshrrev_b32_e32 v53, 16, v34
	s_waitcnt lgkmcnt(0)
	v_lshrrev_b32_e32 v57, 16, v30
	v_mul_f16_sdwa v72, v17, v32 dst_sel:DWORD dst_unused:UNUSED_PAD src0_sel:WORD_1 src1_sel:DWORD
	v_lshrrev_b32_e32 v59, 16, v35
	v_mul_f16_sdwa v70, v17, v56 dst_sel:DWORD dst_unused:UNUSED_PAD src0_sel:WORD_1 src1_sel:DWORD
	v_mul_f16_sdwa v68, v16, v53 dst_sel:DWORD dst_unused:UNUSED_PAD src0_sel:WORD_1 src1_sel:DWORD
	v_lshrrev_b32_e32 v60, 16, v33
	v_mul_f16_sdwa v69, v16, v34 dst_sel:DWORD dst_unused:UNUSED_PAD src0_sel:WORD_1 src1_sel:DWORD
	v_lshrrev_b32_e32 v71, 16, v31
	v_fmac_f16_e32 v70, v17, v32
	v_mul_f16_sdwa v32, v18, v57 dst_sel:DWORD dst_unused:UNUSED_PAD src0_sel:WORD_1 src1_sel:DWORD
	v_fmac_f16_e32 v68, v16, v34
	v_fma_f16 v34, v16, v53, -v69
	v_fma_f16 v53, v17, v56, -v72
	v_mul_f16_sdwa v56, v18, v30 dst_sel:DWORD dst_unused:UNUSED_PAD src0_sel:WORD_1 src1_sel:DWORD
	v_fmac_f16_e32 v32, v18, v30
	v_mul_f16_sdwa v69, v16, v59 dst_sel:DWORD dst_unused:UNUSED_PAD src0_sel:WORD_1 src1_sel:DWORD
	v_mul_f16_sdwa v72, v16, v35 dst_sel:DWORD dst_unused:UNUSED_PAD src0_sel:WORD_1 src1_sel:DWORD
	;; [unrolled: 1-line block ×3, first 2 shown]
	v_fma_f16 v56, v18, v57, -v56
	v_sub_f16_e32 v32, v68, v32
	v_fmac_f16_e32 v69, v16, v35
	v_fma_f16 v35, v16, v59, -v72
	v_sub_f16_e32 v57, v28, v70
	v_fmac_f16_e32 v30, v17, v33
	v_mul_f16_sdwa v33, v17, v33 dst_sel:DWORD dst_unused:UNUSED_PAD src0_sel:WORD_1 src1_sel:DWORD
	v_fma_f16 v59, v68, 2.0, -v32
	v_mul_f16_sdwa v68, v18, v71 dst_sel:DWORD dst_unused:UNUSED_PAD src0_sel:WORD_1 src1_sel:DWORD
	v_mul_f16_sdwa v70, v18, v31 dst_sel:DWORD dst_unused:UNUSED_PAD src0_sel:WORD_1 src1_sel:DWORD
	v_lshrrev_b32_e32 v48, 16, v28
	v_lshrrev_b32_e32 v58, 16, v29
	v_fma_f16 v33, v17, v60, -v33
	v_fmac_f16_e32 v68, v18, v31
	v_fma_f16 v31, v18, v71, -v70
	v_sub_f16_e32 v53, v48, v53
	v_sub_f16_e32 v56, v34, v56
	v_sub_f16_e32 v30, v29, v30
	v_sub_f16_e32 v33, v58, v33
	v_sub_f16_e32 v60, v69, v68
	v_sub_f16_e32 v31, v35, v31
	v_fma_f16 v28, v28, 2.0, -v57
	v_fma_f16 v48, v48, 2.0, -v53
	;; [unrolled: 1-line block ×7, first 2 shown]
	v_sub_f16_e32 v59, v28, v59
	v_sub_f16_e32 v34, v48, v34
	v_add_f16_e32 v56, v57, v56
	v_sub_f16_e32 v32, v53, v32
	v_sub_f16_e32 v68, v29, v68
	;; [unrolled: 1-line block ×3, first 2 shown]
	v_add_f16_e32 v31, v30, v31
	v_sub_f16_e32 v60, v33, v60
	v_fma_f16 v28, v28, 2.0, -v59
	v_fma_f16 v48, v48, 2.0, -v34
	;; [unrolled: 1-line block ×8, first 2 shown]
	v_pack_b32_f16 v28, v28, v48
	v_pack_b32_f16 v48, v57, v53
	;; [unrolled: 1-line block ×8, first 2 shown]
	s_barrier
	buffer_gl0_inv
	ds_write2_b32 v65, v28, v48 offset1:4
	ds_write2_b32 v65, v34, v32 offset0:8 offset1:12
	ds_write2_b32 v64, v29, v30 offset1:4
	ds_write2_b32 v64, v33, v31 offset0:8 offset1:12
	s_and_saveexec_b32 s1, s0
	s_cbranch_execz .LBB0_29
; %bb.28:
	v_mul_f16_sdwa v28, v17, v67 dst_sel:DWORD dst_unused:UNUSED_PAD src0_sel:WORD_1 src1_sel:DWORD
	v_mul_f16_sdwa v29, v16, v51 dst_sel:DWORD dst_unused:UNUSED_PAD src0_sel:WORD_1 src1_sel:DWORD
	;; [unrolled: 1-line block ×6, first 2 shown]
	v_fmac_f16_e32 v28, v17, v63
	v_fma_f16 v29, v16, v55, -v29
	v_fmac_f16_e32 v31, v16, v51
	v_fmac_f16_e32 v32, v18, v54
	v_fma_f16 v16, v17, v67, -v30
	v_fma_f16 v17, v18, v62, -v33
	v_sub_f16_e32 v18, v50, v28
	v_and_or_b32 v33, 0xff0, v61, v49
	v_sub_f16_e32 v28, v31, v32
	v_sub_f16_e32 v16, v52, v16
	;; [unrolled: 1-line block ×3, first 2 shown]
	v_fma_f16 v30, v50, 2.0, -v18
	v_lshlrev_b32_e32 v33, 2, v33
	v_fma_f16 v31, v31, 2.0, -v28
	v_fma_f16 v32, v52, 2.0, -v16
	;; [unrolled: 1-line block ×3, first 2 shown]
	v_add_f16_e32 v17, v18, v17
	v_sub_f16_e32 v28, v16, v28
	v_sub_f16_e32 v31, v30, v31
	;; [unrolled: 1-line block ×3, first 2 shown]
	v_fma_f16 v18, v18, 2.0, -v17
	v_fma_f16 v16, v16, 2.0, -v28
	;; [unrolled: 1-line block ×3, first 2 shown]
	v_pack_b32_f16 v17, v17, v28
	v_fma_f16 v32, v32, 2.0, -v29
	v_pack_b32_f16 v16, v18, v16
	v_pack_b32_f16 v18, v31, v29
	;; [unrolled: 1-line block ×3, first 2 shown]
	ds_write2_b32 v33, v30, v16 offset1:4
	ds_write2_b32 v33, v18, v17 offset0:8 offset1:12
.LBB0_29:
	s_or_b32 exec_lo, exec_lo, s1
	s_waitcnt lgkmcnt(0)
	s_barrier
	buffer_gl0_inv
	v_add_nc_u32_e32 v16, 0x500, v36
	ds_read2_b32 v[29:30], v36 offset1:176
	v_add_nc_u32_e32 v17, 0xa00, v36
	v_add_nc_u32_e32 v18, 0x1000, v36
	;; [unrolled: 1-line block ×3, first 2 shown]
	ds_read2_b32 v[31:32], v16 offset0:32 offset1:208
	ds_read_b32 v35, v36 offset:7040
	ds_read2_b32 v[33:34], v17 offset0:64 offset1:240
	ds_read2_b32 v[48:49], v18 offset0:32 offset1:208
	ds_read2_b32 v[50:51], v28 offset1:176
	s_waitcnt lgkmcnt(0)
	s_barrier
	buffer_gl0_inv
	s_mov_b32 s4, 0x6be69c90
	s_mov_b32 s5, 0x3f40ecf5
	v_lshrrev_b32_e32 v52, 16, v30
	v_mul_f16_sdwa v54, v4, v30 dst_sel:DWORD dst_unused:UNUSED_PAD src0_sel:WORD_1 src1_sel:DWORD
	v_lshrrev_b32_e32 v55, 16, v31
	v_lshrrev_b32_e32 v56, 16, v32
	v_mul_f16_sdwa v63, v4, v52 dst_sel:DWORD dst_unused:UNUSED_PAD src0_sel:WORD_1 src1_sel:DWORD
	v_lshrrev_b32_e32 v58, 16, v34
	v_fma_f16 v52, v4, v52, -v54
	v_mul_f16_sdwa v54, v5, v31 dst_sel:DWORD dst_unused:UNUSED_PAD src0_sel:WORD_1 src1_sel:DWORD
	v_mul_f16_sdwa v64, v6, v32 dst_sel:DWORD dst_unused:UNUSED_PAD src0_sel:WORD_1 src1_sel:DWORD
	;; [unrolled: 1-line block ×4, first 2 shown]
	v_fmac_f16_e32 v63, v4, v30
	v_lshrrev_b32_e32 v57, 16, v33
	v_fma_f16 v30, v5, v55, -v54
	v_fmac_f16_e32 v67, v5, v31
	v_fmac_f16_e32 v68, v6, v32
	v_fma_f16 v5, v6, v56, -v64
	v_mul_f16_sdwa v6, v0, v58 dst_sel:DWORD dst_unused:UNUSED_PAD src0_sel:WORD_1 src1_sel:DWORD
	v_add_f16_e32 v31, v29, v63
	v_lshrrev_b32_e32 v59, 16, v48
	v_mul_f16_sdwa v4, v7, v57 dst_sel:DWORD dst_unused:UNUSED_PAD src0_sel:WORD_1 src1_sel:DWORD
	v_mul_f16_sdwa v32, v0, v34 dst_sel:DWORD dst_unused:UNUSED_PAD src0_sel:WORD_1 src1_sel:DWORD
	v_fmac_f16_e32 v6, v0, v34
	v_add_f16_sdwa v34, v29, v52 dst_sel:DWORD dst_unused:UNUSED_PAD src0_sel:WORD_1 src1_sel:DWORD
	v_add_f16_e32 v31, v31, v67
	v_lshrrev_b32_e32 v60, 16, v49
	v_mul_f16_sdwa v65, v7, v33 dst_sel:DWORD dst_unused:UNUSED_PAD src0_sel:WORD_1 src1_sel:DWORD
	v_fmac_f16_e32 v4, v7, v33
	v_mul_f16_sdwa v33, v1, v59 dst_sel:DWORD dst_unused:UNUSED_PAD src0_sel:WORD_1 src1_sel:DWORD
	v_fma_f16 v0, v0, v58, -v32
	v_mul_f16_sdwa v32, v1, v48 dst_sel:DWORD dst_unused:UNUSED_PAD src0_sel:WORD_1 src1_sel:DWORD
	v_add_f16_e32 v34, v34, v30
	v_add_f16_e32 v31, v31, v68
	v_lshrrev_b32_e32 v61, 16, v50
	v_fma_f16 v7, v7, v57, -v65
	v_fmac_f16_e32 v33, v1, v48
	v_mul_f16_sdwa v48, v2, v60 dst_sel:DWORD dst_unused:UNUSED_PAD src0_sel:WORD_1 src1_sel:DWORD
	v_fma_f16 v1, v1, v59, -v32
	v_add_f16_e32 v32, v34, v5
	v_add_f16_e32 v31, v31, v4
	v_lshrrev_b32_e32 v62, 16, v51
	v_mul_f16_sdwa v54, v2, v49 dst_sel:DWORD dst_unused:UNUSED_PAD src0_sel:WORD_1 src1_sel:DWORD
	v_fmac_f16_e32 v48, v2, v49
	v_mul_f16_sdwa v34, v3, v61 dst_sel:DWORD dst_unused:UNUSED_PAD src0_sel:WORD_1 src1_sel:DWORD
	v_add_f16_e32 v32, v32, v7
	v_add_f16_e32 v31, v31, v6
	v_mul_f16_sdwa v49, v3, v50 dst_sel:DWORD dst_unused:UNUSED_PAD src0_sel:WORD_1 src1_sel:DWORD
	v_lshrrev_b32_e32 v53, 16, v35
	v_fma_f16 v2, v2, v60, -v54
	v_mul_f16_sdwa v54, v24, v62 dst_sel:DWORD dst_unused:UNUSED_PAD src0_sel:WORD_1 src1_sel:DWORD
	v_fmac_f16_e32 v34, v3, v50
	v_add_f16_e32 v32, v32, v0
	v_add_f16_e32 v31, v31, v33
	v_fma_f16 v3, v3, v61, -v49
	v_mul_f16_sdwa v49, v25, v35 dst_sel:DWORD dst_unused:UNUSED_PAD src0_sel:WORD_1 src1_sel:DWORD
	v_fmac_f16_e32 v54, v24, v51
	v_add_f16_e32 v32, v32, v1
	v_add_f16_e32 v31, v31, v48
	v_mul_f16_sdwa v50, v24, v51 dst_sel:DWORD dst_unused:UNUSED_PAD src0_sel:WORD_1 src1_sel:DWORD
	v_mul_f16_sdwa v51, v25, v53 dst_sel:DWORD dst_unused:UNUSED_PAD src0_sel:WORD_1 src1_sel:DWORD
	v_fma_f16 v49, v25, v53, -v49
	v_add_f16_e32 v32, v32, v2
	v_add_f16_e32 v31, v31, v34
	v_fma_f16 v24, v24, v62, -v50
	v_fmac_f16_e32 v51, v25, v35
	v_sub_f16_e32 v25, v52, v49
	v_add_f16_e32 v32, v32, v3
	v_add_f16_e32 v31, v31, v54
	;; [unrolled: 1-line block ×4, first 2 shown]
	v_mul_f16_e32 v52, 0xb853, v25
	v_sub_f16_e32 v72, v30, v24
	v_add_f16_e32 v32, v32, v24
	v_sub_f16_e32 v53, v63, v51
	v_mul_f16_e32 v55, 0x3abb, v35
	v_fmamk_f16 v56, v50, 0x3abb, v52
	v_add_f16_e32 v31, v31, v51
	v_mul_f16_e32 v51, 0xbb47, v25
	v_mul_f16_e32 v58, 0x36a6, v35
	;; [unrolled: 1-line block ×8, first 2 shown]
	v_add_f16_e32 v74, v67, v54
	v_mul_f16_e32 v75, 0xbb47, v72
	v_add_f16_e32 v24, v30, v24
	v_add_f16_e32 v32, v32, v49
	v_fmamk_f16 v49, v53, 0x3853, v55
	v_add_f16_e32 v56, v29, v56
	v_fma_f16 v52, v50, 0x3abb, -v52
	v_fmac_f16_e32 v55, 0xb853, v53
	v_fmamk_f16 v57, v50, 0x36a6, v51
	v_fmamk_f16 v60, v53, 0x3b47, v58
	v_fma_f16 v51, v50, 0x36a6, -v51
	v_fmac_f16_e32 v58, 0xbb47, v53
	v_fmamk_f16 v61, v50, 0xb08e, v59
	v_fmamk_f16 v63, v53, 0x3beb, v62
	;; [unrolled: 4-line block ×4, first 2 shown]
	v_fma_f16 v25, v50, 0xbbad, -v25
	v_fmac_f16_e32 v35, 0xb482, v53
	v_sub_f16_e32 v30, v67, v54
	v_fmamk_f16 v50, v74, 0x36a6, v75
	v_mul_f16_e32 v53, 0x36a6, v24
	v_add_f16_sdwa v49, v29, v49 dst_sel:DWORD dst_unused:UNUSED_PAD src0_sel:WORD_1 src1_sel:DWORD
	v_add_f16_e32 v52, v29, v52
	v_add_f16_sdwa v55, v29, v55 dst_sel:DWORD dst_unused:UNUSED_PAD src0_sel:WORD_1 src1_sel:DWORD
	v_add_f16_e32 v57, v29, v57
	;; [unrolled: 2-line block ×10, first 2 shown]
	v_fmamk_f16 v50, v30, 0x3b47, v53
	v_mul_f16_e32 v56, 0xba0c, v72
	v_fma_f16 v67, v74, 0x36a6, -v75
	v_fmac_f16_e32 v53, 0xbb47, v30
	v_mul_f16_e32 v73, 0xb93d, v24
	v_add_f16_e32 v49, v50, v49
	v_fmamk_f16 v50, v74, 0xb93d, v56
	v_add_f16_e32 v52, v67, v52
	v_add_f16_e32 v53, v53, v55
	v_fmamk_f16 v55, v30, 0x3a0c, v73
	v_mul_f16_e32 v67, 0x3482, v72
	v_add_f16_e32 v50, v50, v57
	v_fma_f16 v56, v74, 0xb93d, -v56
	v_fmac_f16_e32 v73, 0xba0c, v30
	v_add_f16_e32 v55, v55, v60
	v_fmamk_f16 v57, v74, 0xbbad, v67
	v_mul_f16_e32 v60, 0xbbad, v24
	v_add_f16_e32 v51, v56, v51
	v_add_f16_e32 v56, v73, v58
	v_mul_f16_e32 v58, 0x3beb, v72
	v_add_f16_e32 v57, v57, v61
	v_fmamk_f16 v61, v30, 0xb482, v60
	v_mul_f16_e32 v75, 0xb08e, v24
	v_fma_f16 v67, v74, 0xbbad, -v67
	v_fmamk_f16 v73, v74, 0xb08e, v58
	v_mul_f16_e32 v24, 0x3abb, v24
	v_add_f16_e32 v61, v61, v63
	v_fmamk_f16 v63, v30, 0xbbeb, v75
	v_fma_f16 v58, v74, 0xb08e, -v58
	v_fmac_f16_e32 v75, 0x3beb, v30
	v_fmac_f16_e32 v60, 0x3482, v30
	v_add_f16_e32 v59, v67, v59
	v_mul_f16_e32 v67, 0x3853, v72
	v_add_f16_e32 v63, v63, v70
	v_fmamk_f16 v70, v30, 0xb853, v24
	v_add_f16_e32 v58, v58, v64
	v_add_f16_e32 v64, v75, v65
	v_sub_f16_e32 v65, v5, v3
	v_add_f16_e32 v3, v5, v3
	v_add_f16_e32 v60, v60, v62
	;; [unrolled: 1-line block ×3, first 2 shown]
	v_fmamk_f16 v69, v74, 0x3abb, v67
	v_add_f16_e32 v54, v70, v54
	v_add_f16_e32 v70, v68, v34
	v_mul_f16_e32 v5, 0xbbeb, v65
	v_fma_f16 v67, v74, 0x3abb, -v67
	v_fmac_f16_e32 v24, 0x3853, v30
	v_sub_f16_e32 v30, v68, v34
	v_mul_f16_e32 v34, 0xb08e, v3
	v_fmamk_f16 v68, v70, 0xb08e, v5
	v_add_f16_e32 v25, v67, v25
	v_add_f16_e32 v24, v24, v29
	v_mul_f16_e32 v29, 0x3482, v65
	v_fmamk_f16 v67, v30, 0x3beb, v34
	v_add_f16_e32 v35, v68, v35
	v_fma_f16 v5, v70, 0xb08e, -v5
	v_fmac_f16_e32 v34, 0xbbeb, v30
	v_fmamk_f16 v68, v70, 0xbbad, v29
	v_add_f16_e32 v49, v67, v49
	v_mul_f16_e32 v67, 0xbbad, v3
	v_add_f16_e32 v5, v5, v52
	v_add_f16_e32 v34, v34, v53
	;; [unrolled: 1-line block ×3, first 2 shown]
	v_mul_f16_e32 v52, 0x3b47, v65
	v_fmamk_f16 v53, v30, 0xb482, v67
	v_mul_f16_e32 v68, 0x36a6, v3
	v_add_f16_e32 v69, v69, v71
	v_fma_f16 v29, v70, 0xbbad, -v29
	v_fmac_f16_e32 v67, 0x3482, v30
	v_fmamk_f16 v71, v70, 0x36a6, v52
	v_add_f16_e32 v53, v53, v55
	v_fmamk_f16 v55, v30, 0xbb47, v68
	v_add_f16_e32 v29, v29, v51
	v_add_f16_e32 v51, v67, v56
	;; [unrolled: 1-line block ×3, first 2 shown]
	v_mul_f16_e32 v57, 0xb853, v65
	v_fma_f16 v52, v70, 0x36a6, -v52
	v_fmac_f16_e32 v68, 0x3b47, v30
	v_add_f16_e32 v55, v55, v61
	v_mul_f16_e32 v61, 0x3abb, v3
	v_fmamk_f16 v67, v70, 0x3abb, v57
	v_add_f16_e32 v52, v52, v59
	v_add_f16_e32 v59, v68, v60
	v_mul_f16_e32 v60, 0xba0c, v65
	v_fmamk_f16 v65, v30, 0x3853, v61
	v_fma_f16 v57, v70, 0x3abb, -v57
	v_fmac_f16_e32 v61, 0xb853, v30
	v_add_f16_e32 v62, v67, v62
	v_fmamk_f16 v67, v70, 0xb93d, v60
	v_mul_f16_e32 v3, 0xb93d, v3
	v_add_f16_e32 v57, v57, v58
	v_add_f16_e32 v58, v61, v64
	v_sub_f16_e32 v64, v7, v2
	v_add_f16_e32 v2, v7, v2
	v_add_f16_e32 v63, v65, v63
	;; [unrolled: 1-line block ×3, first 2 shown]
	v_fmamk_f16 v65, v30, 0x3a0c, v3
	v_fma_f16 v60, v70, 0xb93d, -v60
	v_add_f16_e32 v7, v4, v48
	v_mul_f16_e32 v67, 0xba0c, v64
	v_fmac_f16_e32 v3, 0xba0c, v30
	v_sub_f16_e32 v4, v4, v48
	v_mul_f16_e32 v30, 0xb93d, v2
	v_add_f16_e32 v48, v65, v54
	v_fmamk_f16 v54, v7, 0xb93d, v67
	v_add_f16_e32 v25, v60, v25
	v_add_f16_e32 v3, v3, v24
	v_fmamk_f16 v24, v4, 0x3a0c, v30
	v_mul_f16_e32 v60, 0x3beb, v64
	v_fmac_f16_e32 v30, 0xba0c, v4
	v_add_f16_e32 v35, v54, v35
	v_fma_f16 v54, v7, 0xb93d, -v67
	v_add_f16_e32 v24, v24, v49
	v_fmamk_f16 v49, v7, 0xb08e, v60
	v_mul_f16_e32 v65, 0xb08e, v2
	v_add_f16_e32 v30, v30, v34
	v_mul_f16_e32 v34, 0xb853, v64
	v_add_f16_e32 v5, v54, v5
	v_add_f16_e32 v49, v49, v50
	v_fmamk_f16 v50, v4, 0xbbeb, v65
	v_fma_f16 v54, v7, 0xb08e, -v60
	v_fmamk_f16 v60, v7, 0x3abb, v34
	v_mul_f16_e32 v67, 0x3abb, v2
	v_fma_f16 v34, v7, 0x3abb, -v34
	v_add_f16_e32 v50, v50, v53
	v_add_f16_e32 v29, v54, v29
	;; [unrolled: 1-line block ×3, first 2 shown]
	v_fmamk_f16 v54, v4, 0x3853, v67
	v_mul_f16_e32 v56, 0xb482, v64
	v_fmac_f16_e32 v67, 0xb853, v4
	v_mul_f16_e32 v60, 0xbbad, v2
	v_add_f16_e32 v34, v34, v52
	v_add_f16_e32 v54, v54, v55
	v_fmamk_f16 v55, v7, 0xbbad, v56
	v_add_f16_e32 v52, v67, v59
	v_fmamk_f16 v59, v4, 0x3482, v60
	v_mul_f16_e32 v64, 0x3b47, v64
	v_fma_f16 v56, v7, 0xbbad, -v56
	v_fmac_f16_e32 v60, 0xb482, v4
	v_add_f16_e32 v55, v55, v62
	v_mul_f16_e32 v2, 0x36a6, v2
	v_fmamk_f16 v62, v7, 0x36a6, v64
	v_add_f16_e32 v56, v56, v57
	v_add_f16_e32 v57, v60, v58
	v_sub_f16_e32 v58, v0, v1
	v_add_f16_e32 v0, v0, v1
	v_fmac_f16_e32 v65, 0x3beb, v4
	v_add_f16_e32 v60, v62, v61
	v_fmamk_f16 v61, v4, 0xbb47, v2
	v_add_f16_e32 v62, v6, v33
	v_mul_f16_e32 v1, 0xb482, v58
	v_fmac_f16_e32 v2, 0x3b47, v4
	v_sub_f16_e32 v4, v6, v33
	v_mul_f16_e32 v6, 0xbbad, v0
	v_fma_f16 v7, v7, 0x36a6, -v64
	v_fmamk_f16 v33, v62, 0xbbad, v1
	v_add_f16_e32 v2, v2, v3
	v_fma_f16 v1, v62, 0xbbad, -v1
	v_fmamk_f16 v3, v4, 0x3482, v6
	v_add_f16_e32 v7, v7, v25
	v_add_f16_e32 v25, v33, v35
	v_mul_f16_e32 v33, 0x3853, v58
	v_fmac_f16_e32 v6, 0xb482, v4
	v_add_f16_e32 v3, v3, v24
	v_mul_f16_e32 v24, 0x3abb, v0
	v_add_f16_e32 v1, v1, v5
	v_fmamk_f16 v35, v62, 0x3abb, v33
	v_add_f16_e32 v5, v6, v30
	v_mul_f16_e32 v6, 0xba0c, v58
	v_fmamk_f16 v30, v4, 0xb853, v24
	v_add_f16_e32 v51, v65, v51
	v_add_f16_e32 v35, v35, v49
	v_fma_f16 v33, v62, 0x3abb, -v33
	v_fmac_f16_e32 v24, 0x3853, v4
	v_fmamk_f16 v49, v62, 0xb93d, v6
	v_add_f16_e32 v30, v30, v50
	v_mul_f16_e32 v50, 0xb93d, v0
	v_add_f16_e32 v29, v33, v29
	v_add_f16_e32 v24, v24, v51
	;; [unrolled: 1-line block ×3, first 2 shown]
	v_mul_f16_e32 v49, 0x3b47, v58
	v_fmamk_f16 v51, v4, 0x3a0c, v50
	v_add_f16_e32 v48, v61, v48
	v_fma_f16 v6, v62, 0xb93d, -v6
	v_fmac_f16_e32 v50, 0xba0c, v4
	v_mul_f16_e32 v53, 0x36a6, v0
	v_fmamk_f16 v61, v62, 0x36a6, v49
	v_add_f16_e32 v51, v51, v54
	v_mul_f16_e32 v54, 0xbbeb, v58
	v_fma_f16 v49, v62, 0x36a6, -v49
	v_mul_f16_e32 v0, 0xb08e, v0
	v_add_f16_e32 v59, v59, v63
	v_add_f16_e32 v6, v6, v34
	;; [unrolled: 1-line block ×3, first 2 shown]
	v_fmamk_f16 v50, v4, 0xbb47, v53
	v_add_f16_e32 v52, v61, v55
	v_fmamk_f16 v55, v62, 0xb08e, v54
	v_add_f16_e32 v49, v49, v56
	v_fmamk_f16 v56, v4, 0x3beb, v0
	v_fmac_f16_e32 v53, 0x3b47, v4
	v_fma_f16 v54, v62, 0xb08e, -v54
	v_fmac_f16_e32 v0, 0xbbeb, v4
	v_pack_b32_f16 v31, v31, v32
	v_pack_b32_f16 v3, v25, v3
	v_add_f16_e32 v50, v50, v59
	v_add_f16_e32 v55, v55, v60
	v_add_f16_e32 v4, v56, v48
	v_add_f16_e32 v53, v53, v57
	v_add_f16_e32 v7, v54, v7
	v_add_f16_e32 v0, v0, v2
	ds_write2_b32 v66, v31, v3 offset1:16
	v_pack_b32_f16 v2, v35, v30
	v_pack_b32_f16 v3, v33, v51
	;; [unrolled: 1-line block ×9, first 2 shown]
	ds_write2_b32 v66, v2, v3 offset0:32 offset1:48
	ds_write2_b32 v66, v25, v4 offset0:64 offset1:80
	;; [unrolled: 1-line block ×4, first 2 shown]
	ds_write_b32 v66, v1 offset:640
	s_waitcnt lgkmcnt(0)
	s_barrier
	buffer_gl0_inv
	ds_read2_b32 v[0:1], v36 offset1:176
	ds_read2_b32 v[2:3], v16 offset0:32 offset1:208
	ds_read2_b32 v[4:5], v17 offset0:64 offset1:240
	;; [unrolled: 1-line block ×3, first 2 shown]
	ds_read2_b32 v[24:25], v28 offset1:176
	ds_read_b32 v29, v36 offset:7040
	s_waitcnt lgkmcnt(5)
	v_lshrrev_b32_e32 v30, 16, v1
	s_waitcnt lgkmcnt(4)
	v_lshrrev_b32_e32 v31, 16, v2
	v_lshrrev_b32_e32 v32, 16, v3
	s_waitcnt lgkmcnt(3)
	v_lshrrev_b32_e32 v33, 16, v4
	v_mul_f16_sdwa v51, v12, v1 dst_sel:DWORD dst_unused:UNUSED_PAD src0_sel:WORD_1 src1_sel:DWORD
	v_mul_f16_sdwa v50, v12, v30 dst_sel:DWORD dst_unused:UNUSED_PAD src0_sel:WORD_1 src1_sel:DWORD
	;; [unrolled: 1-line block ×3, first 2 shown]
	v_lshrrev_b32_e32 v34, 16, v5
	s_waitcnt lgkmcnt(2)
	v_lshrrev_b32_e32 v35, 16, v6
	v_lshrrev_b32_e32 v48, 16, v7
	v_fmac_f16_e32 v50, v12, v1
	v_fma_f16 v1, v12, v30, -v51
	v_mul_f16_sdwa v12, v13, v2 dst_sel:DWORD dst_unused:UNUSED_PAD src0_sel:WORD_1 src1_sel:DWORD
	v_fmac_f16_e32 v53, v13, v2
	v_mul_f16_sdwa v2, v14, v32 dst_sel:DWORD dst_unused:UNUSED_PAD src0_sel:WORD_1 src1_sel:DWORD
	v_mul_f16_sdwa v30, v14, v3 dst_sel:DWORD dst_unused:UNUSED_PAD src0_sel:WORD_1 src1_sel:DWORD
	;; [unrolled: 1-line block ×3, first 2 shown]
	v_fma_f16 v12, v13, v31, -v12
	v_mul_f16_sdwa v13, v15, v4 dst_sel:DWORD dst_unused:UNUSED_PAD src0_sel:WORD_1 src1_sel:DWORD
	v_fmac_f16_e32 v2, v14, v3
	v_fma_f16 v3, v14, v32, -v30
	v_fmac_f16_e32 v51, v15, v4
	v_mul_f16_sdwa v4, v8, v34 dst_sel:DWORD dst_unused:UNUSED_PAD src0_sel:WORD_1 src1_sel:DWORD
	v_add_f16_e32 v14, v0, v50
	v_fma_f16 v13, v15, v33, -v13
	v_mul_f16_sdwa v15, v8, v5 dst_sel:DWORD dst_unused:UNUSED_PAD src0_sel:WORD_1 src1_sel:DWORD
	v_mul_f16_sdwa v30, v9, v35 dst_sel:DWORD dst_unused:UNUSED_PAD src0_sel:WORD_1 src1_sel:DWORD
	v_fmac_f16_e32 v4, v8, v5
	v_add_f16_sdwa v5, v0, v1 dst_sel:DWORD dst_unused:UNUSED_PAD src0_sel:WORD_1 src1_sel:DWORD
	v_add_f16_e32 v14, v14, v53
	s_waitcnt lgkmcnt(1)
	v_lshrrev_b32_e32 v49, 16, v24
	v_fmac_f16_e32 v30, v9, v6
	v_mul_f16_sdwa v6, v9, v6 dst_sel:DWORD dst_unused:UNUSED_PAD src0_sel:WORD_1 src1_sel:DWORD
	v_add_f16_e32 v5, v5, v12
	v_add_f16_e32 v14, v14, v2
	v_fma_f16 v8, v8, v34, -v15
	v_mul_f16_sdwa v15, v10, v48 dst_sel:DWORD dst_unused:UNUSED_PAD src0_sel:WORD_1 src1_sel:DWORD
	v_mul_f16_sdwa v31, v10, v7 dst_sel:DWORD dst_unused:UNUSED_PAD src0_sel:WORD_1 src1_sel:DWORD
	v_fma_f16 v6, v9, v35, -v6
	v_add_f16_e32 v5, v5, v3
	v_add_f16_e32 v9, v14, v51
	v_lshrrev_b32_e32 v52, 16, v25
	v_fmac_f16_e32 v15, v10, v7
	v_fma_f16 v7, v10, v48, -v31
	v_mul_f16_sdwa v10, v11, v49 dst_sel:DWORD dst_unused:UNUSED_PAD src0_sel:WORD_1 src1_sel:DWORD
	v_add_f16_e32 v5, v5, v13
	v_add_f16_e32 v9, v9, v4
	v_mul_f16_sdwa v14, v11, v24 dst_sel:DWORD dst_unused:UNUSED_PAD src0_sel:WORD_1 src1_sel:DWORD
	s_waitcnt lgkmcnt(0)
	v_lshrrev_b32_e32 v54, 16, v29
	v_mul_f16_sdwa v31, v26, v52 dst_sel:DWORD dst_unused:UNUSED_PAD src0_sel:WORD_1 src1_sel:DWORD
	v_fmac_f16_e32 v10, v11, v24
	v_add_f16_e32 v5, v5, v8
	v_add_f16_e32 v9, v9, v30
	v_fma_f16 v11, v11, v49, -v14
	v_mul_f16_sdwa v14, v27, v29 dst_sel:DWORD dst_unused:UNUSED_PAD src0_sel:WORD_1 src1_sel:DWORD
	v_fmac_f16_e32 v31, v26, v25
	v_add_f16_e32 v5, v5, v6
	v_add_f16_e32 v9, v9, v15
	v_mul_f16_sdwa v24, v26, v25 dst_sel:DWORD dst_unused:UNUSED_PAD src0_sel:WORD_1 src1_sel:DWORD
	v_mul_f16_sdwa v25, v27, v54 dst_sel:DWORD dst_unused:UNUSED_PAD src0_sel:WORD_1 src1_sel:DWORD
	v_fma_f16 v14, v27, v54, -v14
	v_add_f16_e32 v5, v5, v7
	v_add_f16_e32 v9, v9, v10
	v_fma_f16 v24, v26, v52, -v24
	v_fmac_f16_e32 v25, v27, v29
	v_sub_f16_e32 v26, v1, v14
	v_add_f16_e32 v5, v5, v11
	v_add_f16_e32 v9, v9, v31
	;; [unrolled: 1-line block ×4, first 2 shown]
	v_mul_f16_e32 v29, 0xb853, v26
	v_sub_f16_e32 v61, v12, v24
	v_add_f16_e32 v5, v5, v24
	v_sub_f16_e32 v32, v50, v25
	v_mul_f16_e32 v33, 0x3abb, v1
	v_fmamk_f16 v34, v27, 0x3abb, v29
	v_add_f16_e32 v9, v9, v25
	v_mul_f16_e32 v25, 0xbb47, v26
	v_mul_f16_e32 v48, 0x36a6, v1
	;; [unrolled: 1-line block ×8, first 2 shown]
	v_add_f16_e32 v63, v53, v31
	v_mul_f16_e32 v64, 0xbb47, v61
	v_add_f16_e32 v12, v12, v24
	v_add_f16_e32 v5, v5, v14
	v_fmamk_f16 v14, v32, 0x3853, v33
	v_add_f16_e32 v34, v0, v34
	v_fma_f16 v29, v27, 0x3abb, -v29
	v_fmac_f16_e32 v33, 0xb853, v32
	v_fmamk_f16 v35, v27, 0x36a6, v25
	v_fmamk_f16 v50, v32, 0x3b47, v48
	v_fma_f16 v25, v27, 0x36a6, -v25
	v_fmac_f16_e32 v48, 0xbb47, v32
	v_fmamk_f16 v52, v27, 0xb08e, v49
	v_fmamk_f16 v55, v32, 0x3beb, v54
	;; [unrolled: 4-line block ×4, first 2 shown]
	v_fma_f16 v24, v27, 0xbbad, -v26
	v_fmac_f16_e32 v1, 0xb482, v32
	v_sub_f16_e32 v26, v53, v31
	v_fmamk_f16 v27, v63, 0x36a6, v64
	v_mul_f16_e32 v31, 0x36a6, v12
	v_add_f16_sdwa v14, v0, v14 dst_sel:DWORD dst_unused:UNUSED_PAD src0_sel:WORD_1 src1_sel:DWORD
	v_add_f16_e32 v29, v0, v29
	v_add_f16_sdwa v33, v0, v33 dst_sel:DWORD dst_unused:UNUSED_PAD src0_sel:WORD_1 src1_sel:DWORD
	v_add_f16_e32 v35, v0, v35
	;; [unrolled: 2-line block ×10, first 2 shown]
	v_fmamk_f16 v27, v26, 0x3b47, v31
	v_mul_f16_e32 v34, 0xba0c, v61
	v_fma_f16 v53, v63, 0x36a6, -v64
	v_fmac_f16_e32 v31, 0xbb47, v26
	v_mul_f16_e32 v62, 0xb93d, v12
	v_add_f16_e32 v14, v27, v14
	v_fmamk_f16 v27, v63, 0xb93d, v34
	v_add_f16_e32 v29, v53, v29
	v_add_f16_e32 v31, v31, v33
	v_fmamk_f16 v33, v26, 0x3a0c, v62
	v_mul_f16_e32 v53, 0x3482, v61
	v_add_f16_e32 v27, v27, v35
	v_fma_f16 v34, v63, 0xb93d, -v34
	v_fmac_f16_e32 v62, 0xba0c, v26
	v_add_f16_e32 v33, v33, v50
	v_fmamk_f16 v35, v63, 0xbbad, v53
	v_mul_f16_e32 v50, 0xbbad, v12
	v_add_f16_e32 v25, v34, v25
	v_add_f16_e32 v34, v62, v48
	v_mul_f16_e32 v48, 0x3beb, v61
	v_add_f16_e32 v35, v35, v52
	v_fmamk_f16 v52, v26, 0xb482, v50
	v_fmac_f16_e32 v50, 0x3482, v26
	v_mul_f16_e32 v64, 0xb08e, v12
	v_fmamk_f16 v62, v63, 0xb08e, v48
	v_mul_f16_e32 v12, 0x3abb, v12
	v_fma_f16 v48, v63, 0xb08e, -v48
	v_add_f16_e32 v50, v50, v54
	v_fmamk_f16 v54, v26, 0xbbeb, v64
	v_fmac_f16_e32 v64, 0x3beb, v26
	v_fma_f16 v53, v63, 0xbbad, -v53
	v_add_f16_e32 v52, v52, v55
	v_mul_f16_e32 v55, 0x3853, v61
	v_add_f16_e32 v54, v54, v59
	v_fmamk_f16 v59, v26, 0xb853, v12
	v_add_f16_e32 v48, v48, v56
	v_add_f16_e32 v56, v64, v57
	v_sub_f16_e32 v57, v3, v11
	v_add_f16_e32 v3, v3, v11
	v_add_f16_e32 v49, v53, v49
	;; [unrolled: 1-line block ×3, first 2 shown]
	v_fmamk_f16 v58, v63, 0x3abb, v55
	v_add_f16_e32 v32, v59, v32
	v_add_f16_e32 v59, v2, v10
	v_mul_f16_e32 v11, 0xbbeb, v57
	v_fma_f16 v55, v63, 0x3abb, -v55
	v_fmac_f16_e32 v12, 0x3853, v26
	v_sub_f16_e32 v2, v2, v10
	v_mul_f16_e32 v10, 0xb08e, v3
	v_fmamk_f16 v26, v59, 0xb08e, v11
	v_add_f16_e32 v24, v55, v24
	v_add_f16_e32 v0, v12, v0
	v_mul_f16_e32 v12, 0x3482, v57
	v_fmamk_f16 v55, v2, 0x3beb, v10
	v_add_f16_e32 v1, v26, v1
	v_fma_f16 v11, v59, 0xb08e, -v11
	v_fmac_f16_e32 v10, 0xbbeb, v2
	v_fmamk_f16 v26, v59, 0xbbad, v12
	v_add_f16_e32 v14, v55, v14
	v_mul_f16_e32 v55, 0xbbad, v3
	v_add_f16_e32 v11, v11, v29
	v_add_f16_e32 v10, v10, v31
	;; [unrolled: 1-line block ×3, first 2 shown]
	v_mul_f16_e32 v27, 0x3b47, v57
	v_fmamk_f16 v29, v2, 0xb482, v55
	v_mul_f16_e32 v31, 0x36a6, v3
	v_add_f16_e32 v58, v58, v60
	v_fma_f16 v12, v59, 0xbbad, -v12
	v_fmac_f16_e32 v55, 0x3482, v2
	v_fmamk_f16 v60, v59, 0x36a6, v27
	v_add_f16_e32 v29, v29, v33
	v_fmamk_f16 v33, v2, 0xbb47, v31
	v_add_f16_e32 v12, v12, v25
	v_add_f16_e32 v25, v55, v34
	;; [unrolled: 1-line block ×3, first 2 shown]
	v_mul_f16_e32 v35, 0xb853, v57
	v_fma_f16 v27, v59, 0x36a6, -v27
	v_fmac_f16_e32 v31, 0x3b47, v2
	v_add_f16_e32 v33, v33, v52
	v_mul_f16_e32 v52, 0x3abb, v3
	v_fmamk_f16 v55, v59, 0x3abb, v35
	v_add_f16_e32 v27, v27, v49
	v_add_f16_e32 v31, v31, v50
	v_mul_f16_e32 v49, 0xba0c, v57
	v_fmamk_f16 v50, v2, 0x3853, v52
	v_add_f16_e32 v53, v55, v53
	v_fma_f16 v35, v59, 0x3abb, -v35
	v_fmac_f16_e32 v52, 0xb853, v2
	v_fmamk_f16 v55, v59, 0xb93d, v49
	v_add_f16_e32 v50, v50, v54
	v_mul_f16_e32 v3, 0xb93d, v3
	v_sub_f16_e32 v54, v13, v7
	v_add_f16_e32 v7, v13, v7
	v_add_f16_e32 v35, v35, v48
	;; [unrolled: 1-line block ×4, first 2 shown]
	v_fmamk_f16 v55, v2, 0x3a0c, v3
	v_fma_f16 v49, v59, 0xb93d, -v49
	v_add_f16_e32 v13, v51, v15
	v_mul_f16_e32 v56, 0xba0c, v54
	v_fmac_f16_e32 v3, 0xba0c, v2
	v_sub_f16_e32 v2, v51, v15
	v_mul_f16_e32 v15, 0xb93d, v7
	v_add_f16_e32 v24, v49, v24
	v_fmamk_f16 v51, v13, 0xb93d, v56
	v_add_f16_e32 v0, v3, v0
	v_mul_f16_e32 v49, 0x3beb, v54
	v_fmamk_f16 v3, v2, 0x3a0c, v15
	v_fmac_f16_e32 v15, 0xba0c, v2
	v_add_f16_e32 v32, v55, v32
	v_add_f16_e32 v1, v51, v1
	v_fma_f16 v51, v13, 0xb93d, -v56
	v_add_f16_e32 v3, v3, v14
	v_fmamk_f16 v14, v13, 0xb08e, v49
	v_mul_f16_e32 v55, 0xb08e, v7
	v_add_f16_e32 v10, v15, v10
	v_mul_f16_e32 v15, 0xb853, v54
	v_add_f16_e32 v11, v51, v11
	v_add_f16_e32 v14, v14, v26
	v_fmamk_f16 v26, v2, 0xbbeb, v55
	v_fma_f16 v49, v13, 0xb08e, -v49
	v_fmamk_f16 v51, v13, 0x3abb, v15
	v_mul_f16_e32 v56, 0x3abb, v7
	v_fma_f16 v15, v13, 0x3abb, -v15
	v_add_f16_e32 v26, v26, v29
	v_add_f16_e32 v12, v49, v12
	;; [unrolled: 1-line block ×3, first 2 shown]
	v_fmamk_f16 v34, v2, 0x3853, v56
	v_mul_f16_e32 v49, 0xb482, v54
	v_mul_f16_e32 v51, 0xbbad, v7
	v_add_f16_e32 v15, v15, v27
	v_mul_f16_e32 v54, 0x3b47, v54
	v_add_f16_e32 v33, v34, v33
	v_fmamk_f16 v34, v13, 0xbbad, v49
	v_fmamk_f16 v27, v2, 0x3482, v51
	v_fma_f16 v49, v13, 0xbbad, -v49
	v_fmac_f16_e32 v51, 0xb482, v2
	v_mul_f16_e32 v7, 0x36a6, v7
	v_add_f16_e32 v34, v34, v53
	v_add_f16_e32 v27, v27, v50
	v_fmamk_f16 v50, v13, 0x36a6, v54
	v_add_f16_e32 v35, v49, v35
	v_sub_f16_e32 v49, v8, v6
	v_add_f16_e32 v6, v8, v6
	v_fmac_f16_e32 v55, 0x3beb, v2
	v_add_f16_e32 v50, v50, v52
	v_add_f16_e32 v52, v4, v30
	v_mul_f16_e32 v53, 0xb482, v49
	v_fmac_f16_e32 v56, 0xb853, v2
	v_add_f16_e32 v48, v51, v48
	v_fmamk_f16 v51, v2, 0xbb47, v7
	v_fma_f16 v8, v13, 0x36a6, -v54
	v_fmac_f16_e32 v7, 0x3b47, v2
	v_sub_f16_e32 v2, v4, v30
	v_fmamk_f16 v4, v52, 0xbbad, v53
	v_mul_f16_e32 v13, 0xbbad, v6
	v_add_f16_e32 v30, v51, v32
	v_add_f16_e32 v8, v8, v24
	;; [unrolled: 1-line block ×4, first 2 shown]
	v_fmamk_f16 v4, v2, 0x3482, v13
	v_mul_f16_e32 v7, 0x3853, v49
	v_fma_f16 v24, v52, 0xbbad, -v53
	v_fmac_f16_e32 v13, 0xb482, v2
	v_mul_f16_e32 v32, 0x3abb, v6
	v_add_f16_e32 v25, v55, v25
	v_add_f16_e32 v3, v4, v3
	v_fmamk_f16 v4, v52, 0x3abb, v7
	v_add_f16_e32 v11, v24, v11
	v_add_f16_e32 v10, v13, v10
	v_fmamk_f16 v13, v2, 0xb853, v32
	v_mul_f16_e32 v24, 0xba0c, v49
	v_fma_f16 v7, v52, 0x3abb, -v7
	v_fmac_f16_e32 v32, 0x3853, v2
	v_add_f16_e32 v4, v4, v14
	v_add_f16_e32 v13, v13, v26
	v_fmamk_f16 v14, v52, 0xb93d, v24
	v_mul_f16_e32 v26, 0xb93d, v6
	v_add_f16_e32 v7, v7, v12
	v_add_f16_e32 v12, v32, v25
	v_mul_f16_e32 v25, 0x3b47, v49
	v_add_f16_e32 v31, v56, v31
	v_add_f16_e32 v14, v14, v29
	v_fmamk_f16 v29, v2, 0x3a0c, v26
	v_fma_f16 v24, v52, 0xb93d, -v24
	v_fmac_f16_e32 v26, 0xba0c, v2
	v_fmamk_f16 v32, v52, 0x36a6, v25
	v_mul_f16_e32 v51, 0x36a6, v6
	v_mul_f16_e32 v6, 0xb08e, v6
	v_add_f16_e32 v15, v24, v15
	v_add_f16_e32 v24, v26, v31
	;; [unrolled: 1-line block ×3, first 2 shown]
	v_mul_f16_e32 v32, 0xbbeb, v49
	v_add_f16_e32 v29, v29, v33
	v_fmamk_f16 v31, v2, 0xbb47, v51
	v_fmamk_f16 v34, v2, 0x3beb, v6
	v_fma_f16 v25, v52, 0x36a6, -v25
	v_fmamk_f16 v33, v52, 0xb08e, v32
	v_fmac_f16_e32 v51, 0x3b47, v2
	v_fma_f16 v32, v52, 0xb08e, -v32
	v_fmac_f16_e32 v6, 0xbbeb, v2
	v_pack_b32_f16 v2, v9, v5
	v_pack_b32_f16 v1, v1, v3
	v_add_f16_e32 v27, v31, v27
	v_add_f16_e32 v3, v33, v50
	;; [unrolled: 1-line block ×7, first 2 shown]
	ds_write2_b32 v36, v2, v1 offset1:176
	v_pack_b32_f16 v1, v4, v13
	v_pack_b32_f16 v2, v14, v29
	;; [unrolled: 1-line block ×9, first 2 shown]
	ds_write2_b32 v16, v1, v2 offset0:32 offset1:208
	ds_write2_b32 v17, v4, v3 offset0:64 offset1:240
	;; [unrolled: 1-line block ×3, first 2 shown]
	ds_write2_b32 v28, v6, v7 offset1:176
	ds_write_b32 v36, v8 offset:7040
	s_waitcnt lgkmcnt(0)
	s_barrier
	buffer_gl0_inv
	ds_read2_b32 v[0:1], v36 offset1:176
	v_add_nc_u32_e32 v6, 0xe00, v36
	ds_read2_b32 v[6:7], v6 offset0:72 offset1:248
	s_waitcnt lgkmcnt(1)
	v_lshrrev_b32_e32 v4, 16, v0
	v_mul_f16_sdwa v2, v47, v4 dst_sel:DWORD dst_unused:UNUSED_PAD src0_sel:WORD_1 src1_sel:DWORD
	s_waitcnt lgkmcnt(0)
	v_lshrrev_b32_e32 v13, 16, v6
	v_fmac_f16_e32 v2, v47, v0
	v_mul_f16_sdwa v0, v47, v0 dst_sel:DWORD dst_unused:UNUSED_PAD src0_sel:WORD_1 src1_sel:DWORD
	v_cvt_f32_f16_e32 v2, v2
	v_fma_f16 v0, v47, v4, -v0
	v_cvt_f64_f32_e32 v[2:3], v2
	v_cvt_f32_f16_e32 v0, v0
	v_cvt_f64_f32_e32 v[4:5], v0
	v_mul_f64 v[2:3], v[2:3], s[4:5]
	v_mul_f64 v[4:5], v[4:5], s[4:5]
	v_and_or_b32 v0, 0x1ff, v3, v2
	v_lshrrev_b32_e32 v2, 8, v3
	v_bfe_u32 v8, v3, 20, 11
	v_cmp_ne_u32_e64 s0, 0, v0
	v_and_or_b32 v4, 0x1ff, v5, v4
	v_lshrrev_b32_e32 v11, 8, v5
	v_bfe_u32 v12, v5, 20, 11
	v_add_nc_u32_e32 v14, 0xfffffc10, v8
	v_cndmask_b32_e64 v0, 0, 1, s0
	v_cmp_ne_u32_e64 s0, 0, v4
	v_add_nc_u32_e32 v25, 0xfffffc10, v12
	v_and_or_b32 v2, 0xffe, v2, v0
	v_sub_nc_u32_e32 v0, 0x3f1, v8
	v_cndmask_b32_e64 v4, 0, 1, s0
	v_cmp_gt_i32_e64 s2, 1, v25
	v_or_b32_e32 v9, 0x1000, v2
	v_med3_i32 v0, v0, 0, 13
	v_and_or_b32 v4, 0xffe, v11, v4
	v_sub_nc_u32_e32 v11, 0x3f1, v12
	v_lshrrev_b32_e32 v10, v0, v9
	v_or_b32_e32 v15, 0x1000, v4
	v_med3_i32 v8, v11, 0, 13
	v_lshl_or_b32 v12, v25, 12, v4
	v_lshlrev_b32_e32 v0, v0, v10
	v_lshrrev_b32_e32 v17, v8, v15
	v_cmp_ne_u32_e64 s0, v0, v9
	v_mul_f16_sdwa v9, v46, v13 dst_sel:DWORD dst_unused:UNUSED_PAD src0_sel:WORD_1 src1_sel:DWORD
	v_cndmask_b32_e64 v0, 0, 1, s0
	v_cmp_gt_i32_e64 s0, 1, v14
	v_fmac_f16_e32 v9, v46, v6
	v_mul_f16_sdwa v6, v46, v6 dst_sel:DWORD dst_unused:UNUSED_PAD src0_sel:WORD_1 src1_sel:DWORD
	v_or_b32_e32 v0, v10, v0
	v_lshl_or_b32 v10, v14, 12, v2
	v_fma_f16 v6, v46, v13, -v6
	v_cndmask_b32_e64 v18, v10, v0, s0
	v_lshlrev_b32_e32 v0, v8, v17
	v_cvt_f32_f16_e32 v10, v9
	v_mad_u64_u32 v[8:9], null, s10, v23, 0
	v_and_b32_e32 v24, 7, v18
	v_cmp_ne_u32_e64 s0, v0, v15
	v_cvt_f64_f32_e32 v[10:11], v10
	v_cvt_f32_f16_e32 v6, v6
	v_cmp_eq_u32_e64 s1, 3, v24
	v_cndmask_b32_e64 v15, 0, 1, s0
	v_cmp_lt_i32_e64 s0, 5, v24
	v_mov_b32_e32 v0, v9
	v_or_b32_e32 v9, v17, v15
	v_lshrrev_b32_e32 v15, 2, v18
	s_or_b32 s0, s1, s0
	v_lshrrev_b32_e32 v18, 16, v5
	v_cndmask_b32_e64 v17, v12, v9, s2
	v_add_co_ci_u32_e64 v12, s0, 0, v15, s0
	v_cmp_ne_u32_e64 s0, 0, v2
	v_cmp_eq_u32_e64 s2, 0x40f, v14
	v_and_b32_e32 v13, 7, v17
	v_cndmask_b32_e64 v2, 0, 1, s0
	v_cmp_gt_i32_e64 s0, 31, v14
	v_mul_f64 v[9:10], v[10:11], s[4:5]
	v_cmp_eq_u32_e64 s1, 3, v13
	v_lshrrev_b32_e32 v14, 16, v3
	v_lshl_or_b32 v2, v2, 9, 0x7c00
	v_cndmask_b32_e64 v15, 0x7c00, v12, s0
	v_cvt_f64_f32_e32 v[11:12], v6
	v_cmp_lt_i32_e64 s0, 5, v13
	v_lshrrev_b32_e32 v6, 2, v17
	v_lshrrev_b32_e32 v17, 16, v1
	v_cndmask_b32_e64 v13, v15, v2, s2
	v_mad_u64_u32 v[2:3], null, s11, v23, v[0:1]
	s_or_b32 s0, s1, s0
	v_mul_f16_sdwa v23, v45, v17 dst_sel:DWORD dst_unused:UNUSED_PAD src0_sel:WORD_1 src1_sel:DWORD
	v_add_co_ci_u32_e64 v6, s0, 0, v6, s0
	v_cmp_ne_u32_e64 s0, 0, v4
	v_and_or_b32 v13, 0x8000, v14, v13
	v_fmac_f16_e32 v23, v45, v1
	v_cndmask_b32_e64 v4, 0, 1, s0
	v_cmp_gt_i32_e64 s0, 31, v25
	v_and_or_b32 v9, 0x1ff, v10, v9
	v_lshrrev_b32_e32 v14, 8, v10
	v_bfe_u32 v15, v10, 20, 11
	v_lshrrev_b32_e32 v10, 16, v10
	v_cndmask_b32_e64 v0, 0x7c00, v6, s0
	v_lshl_or_b32 v6, v4, 9, 0x7c00
	v_mul_f64 v[11:12], v[11:12], s[4:5]
	v_cmp_eq_u32_e64 s0, 0x40f, v25
	v_mad_u64_u32 v[3:4], null, s8, v44, 0
	v_cndmask_b32_e64 v6, v0, v6, s0
	v_cmp_ne_u32_e64 s0, 0, v9
	v_mov_b32_e32 v0, v4
	v_cndmask_b32_e64 v9, 0, 1, s0
	v_mad_u64_u32 v[4:5], null, s9, v44, v[0:1]
	v_and_or_b32 v14, 0xffe, v14, v9
	v_sub_nc_u32_e32 v9, 0x3f1, v15
	v_add_nc_u32_e32 v15, 0xfffffc10, v15
	v_or_b32_e32 v0, 0x1000, v14
	v_med3_i32 v5, v9, 0, 13
	v_and_or_b32 v11, 0x1ff, v12, v11
	v_mov_b32_e32 v9, v2
	v_and_or_b32 v2, 0x8000, v18, v6
	v_and_b32_e32 v6, 0xffff, v13
	v_lshrrev_b32_e32 v13, v5, v0
	v_cvt_f32_f16_e32 v18, v23
	v_cmp_ne_u32_e64 s0, 0, v11
	v_bfe_u32 v24, v12, 20, 11
	v_lshl_or_b32 v23, v2, 16, v6
	v_lshlrev_b32_e32 v2, v5, v13
	v_cvt_f64_f32_e32 v[5:6], v18
	v_cndmask_b32_e64 v11, 0, 1, s0
	v_lshrrev_b32_e32 v18, 8, v12
	v_lshlrev_b64 v[8:9], 2, v[8:9]
	v_cmp_ne_u32_e64 s0, v2, v0
	v_sub_nc_u32_e32 v2, 0x3f1, v24
	v_cmp_eq_u32_e64 s2, 0x40f, v15
	v_and_or_b32 v11, 0xffe, v18, v11
	v_cndmask_b32_e64 v0, 0, 1, s0
	v_med3_i32 v25, v2, 0, 13
	v_add_co_u32 v8, s0, s6, v8
	v_or_b32_e32 v18, 0x1000, v11
	v_add_co_ci_u32_e64 v9, s0, s7, v9, s0
	v_lshlrev_b64 v[2:3], 2, v[3:4]
	v_or_b32_e32 v0, v13, v0
	v_lshl_or_b32 v13, v15, 12, v14
	v_cmp_gt_i32_e64 s0, 1, v15
	v_lshrrev_b32_e32 v26, v25, v18
	s_mul_i32 s6, s8, 0x3c8
	v_mul_f64 v[4:5], v[5:6], s[4:5]
	v_mul_f16_sdwa v6, v45, v1 dst_sel:DWORD dst_unused:UNUSED_PAD src0_sel:WORD_1 src1_sel:DWORD
	v_cndmask_b32_e64 v13, v13, v0, s0
	v_add_co_u32 v0, s0, v8, v2
	v_add_co_ci_u32_e64 v1, s0, v9, v3, s0
	v_lshlrev_b32_e32 v3, v25, v26
	v_and_b32_e32 v2, 7, v13
	v_fma_f16 v6, v45, v17, -v6
	v_lshrrev_b32_e32 v9, 2, v13
	v_add_nc_u32_e32 v8, 0xfffffc10, v24
	v_cmp_ne_u32_e64 s1, v3, v18
	v_cmp_lt_i32_e64 s0, 5, v2
	v_cvt_f32_f16_e32 v6, v6
	global_store_dword v[0:1], v23, off
	v_cndmask_b32_e64 v3, 0, 1, s1
	v_cmp_eq_u32_e64 s1, 3, v2
	v_or_b32_e32 v13, v26, v3
	s_or_b32 s0, s1, s0
	v_cvt_f64_f32_e32 v[2:3], v6
	v_add_co_ci_u32_e64 v9, s0, 0, v9, s0
	v_lshl_or_b32 v6, v8, 12, v11
	v_cmp_gt_i32_e64 s0, 1, v8
	v_and_or_b32 v4, 0x1ff, v5, v4
	v_lshrrev_b32_e32 v17, 8, v5
	v_bfe_u32 v18, v5, 20, 11
	v_lshrrev_b32_e32 v5, 16, v5
	v_cndmask_b32_e64 v6, v6, v13, s0
	v_cmp_gt_i32_e64 s0, 31, v15
	v_cndmask_b32_e64 v9, 0x7c00, v9, s0
	v_cmp_ne_u32_e64 s0, 0, v14
	v_and_b32_e32 v14, 7, v6
	v_lshrrev_b32_e32 v6, 2, v6
	v_cndmask_b32_e64 v13, 0, 1, s0
	v_cmp_ne_u32_e64 s0, 0, v4
	v_cmp_eq_u32_e64 s1, 3, v14
	v_mul_f64 v[2:3], v[2:3], s[4:5]
	v_lshl_or_b32 v13, v13, 9, 0x7c00
	v_cndmask_b32_e64 v4, 0, 1, s0
	v_cmp_lt_i32_e64 s0, 5, v14
	v_sub_nc_u32_e32 v14, 0x3f1, v18
	v_cndmask_b32_e64 v9, v9, v13, s2
	v_and_or_b32 v4, 0xffe, v17, v4
	s_or_b32 s0, s1, s0
	v_med3_i32 v14, v14, 0, 13
	v_add_co_ci_u32_e64 v6, s0, 0, v6, s0
	v_or_b32_e32 v13, 0x1000, v4
	v_cmp_ne_u32_e64 s0, 0, v11
	v_and_or_b32 v10, 0x8000, v10, v9
	v_lshrrev_b32_e32 v17, 16, v7
	s_mul_hi_u32 s1, s8, 0x3c8
	v_lshrrev_b32_e32 v15, v14, v13
	v_cndmask_b32_e64 v11, 0, 1, s0
	v_cmp_gt_i32_e64 s0, 31, v8
	v_and_b32_e32 v10, 0xffff, v10
	v_and_or_b32 v2, 0x1ff, v3, v2
	v_lshlrev_b32_e32 v9, v14, v15
	v_lshl_or_b32 v11, v11, 9, 0x7c00
	v_cndmask_b32_e64 v6, 0x7c00, v6, s0
	v_cmp_eq_u32_e64 s0, 0x40f, v8
	v_mul_f16_sdwa v8, v43, v17 dst_sel:DWORD dst_unused:UNUSED_PAD src0_sel:WORD_1 src1_sel:DWORD
	v_add_nc_u32_e32 v14, 0xfffffc10, v18
	v_cndmask_b32_e64 v6, v6, v11, s0
	v_cmp_ne_u32_e64 s0, v9, v13
	v_lshrrev_b32_e32 v11, 16, v12
	v_lshrrev_b32_e32 v12, 8, v3
	v_bfe_u32 v13, v3, 20, 11
	v_fmac_f16_e32 v8, v43, v7
	v_cndmask_b32_e64 v9, 0, 1, s0
	v_cmp_ne_u32_e64 s0, 0, v2
	v_lshl_or_b32 v18, v14, 12, v4
	v_and_or_b32 v6, 0x8000, v11, v6
	v_cvt_f32_f16_e32 v8, v8
	v_or_b32_e32 v15, v15, v9
	v_cndmask_b32_e64 v2, 0, 1, s0
	v_cmp_gt_i32_e64 s0, 1, v14
	v_lshl_or_b32 v24, v6, 16, v10
	v_cvt_f64_f32_e32 v[8:9], v8
	v_mul_f16_sdwa v7, v43, v7 dst_sel:DWORD dst_unused:UNUSED_PAD src0_sel:WORD_1 src1_sel:DWORD
	v_and_or_b32 v2, 0xffe, v12, v2
	v_sub_nc_u32_e32 v12, 0x3f1, v13
	v_cndmask_b32_e64 v15, v18, v15, s0
	s_mul_i32 s0, s9, 0x3c8
	v_fma_f16 v7, v43, v17, -v7
	v_or_b32_e32 v11, 0x1000, v2
	v_med3_i32 v12, v12, 0, 13
	v_and_b32_e32 v23, 7, v15
	s_add_i32 s7, s1, s0
	v_lshrrev_b32_e32 v6, 2, v15
	s_lshl_b64 s[10:11], s[6:7], 2
	v_lshrrev_b32_e32 v18, v12, v11
	v_cmp_lt_i32_e64 s0, 5, v23
	v_cmp_eq_u32_e64 s1, 3, v23
	v_lshlrev_b32_e32 v12, v12, v18
	s_or_b32 s0, s1, s0
	v_add_co_ci_u32_e64 v6, s0, 0, v6, s0
	v_cmp_ne_u32_e64 s2, v12, v11
	v_add_nc_u32_e32 v12, 0xfffffc10, v13
	v_cmp_ne_u32_e64 s0, 0, v4
	v_mul_f64 v[8:9], v[8:9], s[4:5]
	v_cndmask_b32_e64 v10, 0, 1, s2
	v_lshl_or_b32 v11, v12, 12, v2
	v_cndmask_b32_e64 v4, 0, 1, s0
	v_cmp_gt_i32_e64 s0, 1, v12
	v_or_b32_e32 v10, v18, v10
	v_lshl_or_b32 v4, v4, 9, 0x7c00
	v_cndmask_b32_e64 v10, v11, v10, s0
	v_cmp_gt_i32_e64 s0, 31, v14
	v_and_b32_e32 v11, 7, v10
	v_cndmask_b32_e64 v6, 0x7c00, v6, s0
	v_cmp_eq_u32_e64 s0, 0x40f, v14
	v_lshrrev_b32_e32 v13, 2, v10
	v_cmp_eq_u32_e64 s1, 3, v11
	v_and_or_b32 v8, 0x1ff, v9, v8
	v_cndmask_b32_e64 v4, v6, v4, s0
	v_cmp_lt_i32_e64 s0, 5, v11
	v_cvt_f32_f16_e32 v6, v7
	ds_read2_b32 v[10:11], v16 offset0:32 offset1:208
	v_lshrrev_b32_e32 v14, 8, v9
	v_bfe_u32 v15, v9, 20, 11
	s_or_b32 s0, s1, s0
	v_cvt_f64_f32_e32 v[6:7], v6
	v_add_co_ci_u32_e64 v13, s0, 0, v13, s0
	v_cmp_ne_u32_e64 s0, 0, v2
	v_and_or_b32 v4, 0x8000, v5, v4
	s_mul_i32 s1, s9, 0xfffffce8
	v_cndmask_b32_e64 v2, 0, 1, s0
	v_cmp_ne_u32_e64 s0, 0, v8
	v_lshl_or_b32 v2, v2, 9, 0x7c00
	v_cndmask_b32_e64 v8, 0, 1, s0
	v_cmp_gt_i32_e64 s0, 31, v12
	s_waitcnt lgkmcnt(0)
	v_lshrrev_b32_e32 v17, 16, v10
	v_and_or_b32 v8, 0xffe, v14, v8
	v_sub_nc_u32_e32 v14, 0x3f1, v15
	v_cndmask_b32_e64 v13, 0x7c00, v13, s0
	v_cmp_eq_u32_e64 s0, 0x40f, v12
	v_mul_f16_sdwa v5, v41, v17 dst_sel:DWORD dst_unused:UNUSED_PAD src0_sel:WORD_1 src1_sel:DWORD
	v_or_b32_e32 v16, 0x1000, v8
	v_med3_i32 v14, v14, 0, 13
	v_cndmask_b32_e64 v12, v13, v2, s0
	v_lshrrev_b32_e32 v13, 16, v3
	v_mul_f64 v[2:3], v[6:7], s[4:5]
	v_lshrrev_b32_e32 v6, v14, v16
	v_add_co_u32 v0, s0, v0, s10
	v_add_co_ci_u32_e64 v1, s0, s11, v1, s0
	v_and_or_b32 v7, 0x8000, v13, v12
	v_lshlrev_b32_e32 v12, v14, v6
	s_mul_hi_u32 s0, s8, 0xfffffce8
	v_fmac_f16_e32 v5, v41, v10
	s_sub_i32 s0, s0, s8
	v_add_nc_u32_e32 v14, 0xfffffc10, v15
	s_add_i32 s1, s0, s1
	v_cmp_ne_u32_e64 s0, v12, v16
	v_cvt_f32_f16_e32 v5, v5
	v_and_b32_e32 v13, 0xffff, v4
	v_cndmask_b32_e64 v12, 0, 1, s0
	s_mul_i32 s0, s8, 0xfffffce8
	v_cvt_f64_f32_e32 v[4:5], v5
	s_lshl_b64 s[8:9], s[0:1], 2
	v_and_or_b32 v2, 0x1ff, v3, v2
	v_or_b32_e32 v6, v6, v12
	v_lshl_or_b32 v12, v14, 12, v8
	v_cmp_gt_i32_e64 s0, 1, v14
	v_lshrrev_b32_e32 v15, 8, v3
	v_bfe_u32 v16, v3, 20, 11
	v_lshl_or_b32 v13, v7, 16, v13
	v_lshrrev_b32_e32 v3, 16, v3
	v_cndmask_b32_e64 v12, v12, v6, s0
	v_cmp_ne_u32_e64 s0, 0, v2
	v_and_b32_e32 v18, 7, v12
	v_cndmask_b32_e64 v2, 0, 1, s0
	v_add_co_u32 v6, s0, v0, s8
	v_add_co_ci_u32_e64 v7, s0, s9, v1, s0
	v_and_or_b32 v2, 0xffe, v15, v2
	v_sub_nc_u32_e32 v15, 0x3f1, v16
	global_store_dword v[0:1], v24, off
	global_store_dword v[6:7], v13, off
	v_cmp_lt_i32_e64 s0, 5, v18
	v_cmp_eq_u32_e64 s1, 3, v18
	v_or_b32_e32 v13, 0x1000, v2
	v_med3_i32 v15, v15, 0, 13
	v_mul_f64 v[0:1], v[4:5], s[4:5]
	v_lshrrev_b32_e32 v4, 2, v12
	s_or_b32 s0, s1, s0
	v_mul_f16_sdwa v5, v41, v10 dst_sel:DWORD dst_unused:UNUSED_PAD src0_sel:WORD_1 src1_sel:DWORD
	v_lshrrev_b32_e32 v12, v15, v13
	v_add_nc_u32_e32 v10, 0x1400, v36
	v_add_co_ci_u32_e64 v18, s0, 0, v4, s0
	v_cmp_gt_i32_e64 s0, 31, v14
	v_lshlrev_b32_e32 v15, v15, v12
	v_fma_f16 v17, v41, v17, -v5
	ds_read2_b32 v[4:5], v10 offset0:40 offset1:216
	v_lshrrev_b32_e32 v24, 16, v9
	v_cndmask_b32_e64 v10, 0x7c00, v18, s0
	v_cmp_ne_u32_e64 s0, v15, v13
	v_add_nc_u32_e32 v15, 0xfffffc10, v16
	v_cvt_f32_f16_e32 v16, v17
	v_add_co_u32 v6, s2, v6, s10
	v_cndmask_b32_e64 v13, 0, 1, s0
	v_cmp_ne_u32_e64 s0, 0, v8
	v_lshl_or_b32 v18, v15, 12, v2
	v_and_or_b32 v0, 0x1ff, v1, v0
	v_add_co_ci_u32_e64 v7, s2, s11, v7, s2
	v_cndmask_b32_e64 v8, 0, 1, s0
	v_or_b32_e32 v17, v12, v13
	v_cmp_gt_i32_e64 s0, 1, v15
	v_cvt_f64_f32_e32 v[12:13], v16
	v_lshl_or_b32 v8, v8, 9, 0x7c00
	s_waitcnt lgkmcnt(0)
	v_lshrrev_b32_e32 v23, 16, v4
	v_cndmask_b32_e64 v16, v18, v17, s0
	v_cmp_ne_u32_e64 s0, 0, v0
	v_lshrrev_b32_e32 v17, 8, v1
	v_bfe_u32 v18, v1, 20, 11
	v_cndmask_b32_e64 v0, 0, 1, s0
	v_cmp_eq_u32_e64 s0, 0x40f, v14
	v_sub_nc_u32_e32 v14, 0x3f1, v18
	v_and_or_b32 v0, 0xffe, v17, v0
	v_cndmask_b32_e64 v10, v10, v8, s0
	v_and_b32_e32 v8, 7, v16
	v_lshrrev_b32_e32 v16, 2, v16
	v_med3_i32 v14, v14, 0, 13
	v_or_b32_e32 v25, 0x1000, v0
	v_mul_f16_sdwa v17, v42, v23 dst_sel:DWORD dst_unused:UNUSED_PAD src0_sel:WORD_1 src1_sel:DWORD
	v_cmp_lt_i32_e64 s0, 5, v8
	v_cmp_eq_u32_e64 s1, 3, v8
	v_mul_f64 v[8:9], v[12:13], s[4:5]
	v_lshrrev_b32_e32 v26, v14, v25
	v_fmac_f16_e32 v17, v42, v4
	v_and_or_b32 v10, 0x8000, v24, v10
	s_or_b32 s0, s1, s0
	v_mul_f16_sdwa v4, v42, v4 dst_sel:DWORD dst_unused:UNUSED_PAD src0_sel:WORD_1 src1_sel:DWORD
	v_add_co_ci_u32_e64 v16, s0, 0, v16, s0
	v_cmp_ne_u32_e64 s0, 0, v2
	v_lshlrev_b32_e32 v14, v14, v26
	v_cvt_f32_f16_e32 v12, v17
	v_add_nc_u32_e32 v17, 0xfffffc10, v18
	v_and_b32_e32 v10, 0xffff, v10
	v_cndmask_b32_e64 v2, 0, 1, s0
	v_cmp_gt_i32_e64 s0, 31, v15
	v_cvt_f64_f32_e32 v[12:13], v12
	v_fma_f16 v4, v42, v23, -v4
	v_lshrrev_b32_e32 v24, 16, v11
	v_lshl_or_b32 v2, v2, 9, 0x7c00
	v_cndmask_b32_e64 v16, 0x7c00, v16, s0
	v_cmp_ne_u32_e64 s0, v14, v25
	v_cvt_f32_f16_e32 v4, v4
	v_and_or_b32 v8, 0x1ff, v9, v8
	v_bfe_u32 v18, v9, 20, 11
	v_mul_f16_sdwa v25, v40, v24 dst_sel:DWORD dst_unused:UNUSED_PAD src0_sel:WORD_1 src1_sel:DWORD
	v_cndmask_b32_e64 v14, 0, 1, s0
	v_cmp_eq_u32_e64 s0, 0x40f, v15
	v_lshl_or_b32 v15, v17, 12, v0
	v_fmac_f16_e32 v25, v40, v11
	v_or_b32_e32 v14, v26, v14
	v_cndmask_b32_e64 v2, v16, v2, s0
	v_cmp_gt_i32_e64 s0, 1, v17
	v_mul_f16_sdwa v11, v40, v11 dst_sel:DWORD dst_unused:UNUSED_PAD src0_sel:WORD_1 src1_sel:DWORD
	v_and_or_b32 v16, 0x8000, v3, v2
	v_cndmask_b32_e64 v14, v15, v14, s0
	v_cmp_ne_u32_e64 s0, 0, v8
	v_lshrrev_b32_e32 v15, 8, v9
	v_mul_f64 v[2:3], v[12:13], s[4:5]
	v_sub_nc_u32_e32 v13, 0x3f1, v18
	v_and_b32_e32 v12, 7, v14
	v_cndmask_b32_e64 v8, 0, 1, s0
	v_lshl_or_b32 v10, v16, 16, v10
	v_lshrrev_b32_e32 v9, 16, v9
	v_cmp_lt_i32_e64 s0, 5, v12
	v_and_or_b32 v8, 0xffe, v15, v8
	v_cmp_eq_u32_e64 s1, 3, v12
	v_med3_i32 v12, v13, 0, 13
	v_lshrrev_b32_e32 v13, 2, v14
	global_store_dword v[6:7], v10, off
	v_or_b32_e32 v15, 0x1000, v8
	s_or_b32 s0, s1, s0
	v_add_co_ci_u32_e64 v16, s0, 0, v13, s0
	v_lshrrev_b32_e32 v14, v12, v15
	v_cmp_gt_i32_e64 s0, 31, v17
	v_and_or_b32 v2, 0x1ff, v3, v2
	v_lshlrev_b32_e32 v23, v12, v14
	v_cvt_f64_f32_e32 v[12:13], v4
	v_cndmask_b32_e64 v4, 0x7c00, v16, s0
	v_add_nc_u32_e32 v16, 0xfffffc10, v18
	v_lshrrev_b32_e32 v18, 8, v3
	v_cmp_ne_u32_e64 s0, v23, v15
	v_bfe_u32 v23, v3, 20, 11
	v_lshrrev_b32_e32 v3, 16, v3
	v_cndmask_b32_e64 v15, 0, 1, s0
	v_cmp_ne_u32_e64 s0, 0, v2
	v_or_b32_e32 v14, v14, v15
	v_cndmask_b32_e64 v2, 0, 1, s0
	v_cmp_ne_u32_e64 s0, 0, v0
	v_lshl_or_b32 v15, v16, 12, v8
	v_and_or_b32 v2, 0xffe, v18, v2
	v_cndmask_b32_e64 v0, 0, 1, s0
	v_sub_nc_u32_e32 v18, 0x3f1, v23
	v_cmp_gt_i32_e64 s0, 1, v16
	v_mul_f64 v[12:13], v[12:13], s[4:5]
	v_lshl_or_b32 v0, v0, 9, 0x7c00
	v_med3_i32 v18, v18, 0, 13
	v_cndmask_b32_e64 v14, v15, v14, s0
	v_or_b32_e32 v15, 0x1000, v2
	v_cmp_eq_u32_e64 s0, 0x40f, v17
	v_lshrrev_b32_e32 v17, 16, v1
	v_cvt_f32_f16_e32 v1, v25
	v_and_b32_e32 v26, 7, v14
	v_lshrrev_b32_e32 v27, v18, v15
	v_cndmask_b32_e64 v4, v4, v0, s0
	v_lshrrev_b32_e32 v14, 2, v14
	v_cmp_lt_i32_e64 s0, 5, v26
	v_lshlrev_b32_e32 v0, v18, v27
	v_cmp_eq_u32_e64 s1, 3, v26
	v_add_nc_u32_e32 v18, 0xfffffc10, v23
	v_and_or_b32 v4, 0x8000, v17, v4
	v_cmp_ne_u32_e64 s2, v0, v15
	s_or_b32 s0, s1, s0
	v_cvt_f64_f32_e32 v[0:1], v1
	v_add_co_ci_u32_e64 v14, s0, 0, v14, s0
	v_cndmask_b32_e64 v15, 0, 1, s2
	v_cmp_ne_u32_e64 s0, 0, v8
	v_lshl_or_b32 v23, v18, 12, v2
	v_and_or_b32 v12, 0x1ff, v13, v12
	v_bfe_u32 v25, v13, 20, 11
	v_or_b32_e32 v15, v27, v15
	v_cndmask_b32_e64 v8, 0, 1, s0
	v_cmp_gt_i32_e64 s0, 1, v18
	v_and_b32_e32 v4, 0xffff, v4
	v_lshl_or_b32 v8, v8, 9, 0x7c00
	v_cndmask_b32_e64 v15, v23, v15, s0
	v_cmp_ne_u32_e64 s0, 0, v12
	v_lshrrev_b32_e32 v23, 8, v13
	v_lshrrev_b32_e32 v13, 16, v13
	v_and_b32_e32 v26, 7, v15
	v_cndmask_b32_e64 v12, 0, 1, s0
	v_cmp_gt_i32_e64 s0, 31, v16
	v_mul_f64 v[0:1], v[0:1], s[4:5]
	v_lshrrev_b32_e32 v15, 2, v15
	v_cmp_eq_u32_e64 s1, 3, v26
	v_and_or_b32 v12, 0xffe, v23, v12
	v_cndmask_b32_e64 v14, 0x7c00, v14, s0
	v_sub_nc_u32_e32 v23, 0x3f1, v25
	v_cmp_eq_u32_e64 s0, 0x40f, v16
	v_med3_i32 v16, v23, 0, 13
	v_cndmask_b32_e64 v8, v14, v8, s0
	v_or_b32_e32 v14, 0x1000, v12
	v_cmp_lt_i32_e64 s0, 5, v26
	v_and_or_b32 v23, 0x8000, v9, v8
	v_lshrrev_b32_e32 v17, v16, v14
	s_or_b32 s0, s1, s0
	v_add_co_ci_u32_e64 v8, s0, 0, v15, s0
	v_lshlrev_b32_e32 v9, v16, v17
	v_cmp_gt_i32_e64 s0, 31, v18
	v_and_or_b32 v0, 0x1ff, v1, v0
	v_lshrrev_b32_e32 v16, 8, v1
	v_lshl_or_b32 v4, v23, 16, v4
	v_cndmask_b32_e64 v15, 0x7c00, v8, s0
	v_cmp_ne_u32_e64 s0, v9, v14
	v_fma_f16 v9, v40, v24, -v11
	v_add_nc_u32_e32 v14, 0xfffffc10, v25
	v_cndmask_b32_e64 v8, 0, 1, s0
	v_cmp_ne_u32_e64 s0, 0, v2
	v_lshl_or_b32 v24, v14, 12, v12
	v_or_b32_e32 v11, v17, v8
	v_cndmask_b32_e64 v2, 0, 1, s0
	v_cvt_f32_f16_e32 v8, v9
	v_cmp_ne_u32_e64 s0, 0, v0
	v_bfe_u32 v17, v1, 20, 11
	v_lshrrev_b32_e32 v1, 16, v1
	v_lshl_or_b32 v2, v2, 9, 0x7c00
	v_cvt_f64_f32_e32 v[8:9], v8
	v_cndmask_b32_e64 v0, 0, 1, s0
	v_cmp_gt_i32_e64 s0, 1, v14
	v_and_or_b32 v0, 0xffe, v16, v0
	v_cndmask_b32_e64 v11, v24, v11, s0
	v_sub_nc_u32_e32 v16, 0x3f1, v17
	v_cmp_eq_u32_e64 s0, 0x40f, v18
	v_and_b32_e32 v18, 7, v11
	v_med3_i32 v16, v16, 0, 13
	v_cndmask_b32_e64 v2, v15, v2, s0
	v_or_b32_e32 v15, 0x1000, v0
	v_lshrrev_b32_e32 v11, 2, v11
	v_cmp_lt_i32_e64 s0, 5, v18
	v_cmp_eq_u32_e64 s1, 3, v18
	v_and_or_b32 v23, 0x8000, v3, v2
	v_lshrrev_b32_e32 v10, v16, v15
	v_lshrrev_b32_e32 v18, 16, v5
	v_mul_f64 v[2:3], v[8:9], s[4:5]
	s_or_b32 s0, s1, s0
	v_add_co_ci_u32_e64 v8, s0, 0, v11, s0
	v_lshlrev_b32_e32 v16, v16, v10
	v_cmp_ne_u32_e64 s0, 0, v12
	v_mul_f16_sdwa v9, v39, v18 dst_sel:DWORD dst_unused:UNUSED_PAD src0_sel:WORD_1 src1_sel:DWORD
	v_cndmask_b32_e64 v11, 0, 1, s0
	v_cmp_ne_u32_e64 s0, v16, v15
	v_fmac_f16_e32 v9, v39, v5
	v_add_nc_u32_e32 v15, 0xfffffc10, v17
	v_lshl_or_b32 v11, v11, 9, 0x7c00
	v_cndmask_b32_e64 v12, 0, 1, s0
	v_cmp_gt_i32_e64 s0, 31, v14
	v_cvt_f32_f16_e32 v9, v9
	v_or_b32_e32 v10, v10, v12
	v_cndmask_b32_e64 v8, 0x7c00, v8, s0
	v_cmp_eq_u32_e64 s0, 0x40f, v14
	v_lshl_or_b32 v12, v15, 12, v0
	v_and_or_b32 v2, 0x1ff, v3, v2
	v_lshrrev_b32_e32 v14, 8, v3
	v_bfe_u32 v16, v3, 20, 11
	v_cndmask_b32_e64 v11, v8, v11, s0
	v_cvt_f64_f32_e32 v[8:9], v9
	v_cmp_gt_i32_e64 s0, 1, v15
	v_lshrrev_b32_e32 v3, 16, v3
	v_and_or_b32 v11, 0x8000, v13, v11
	v_cndmask_b32_e64 v10, v12, v10, s0
	v_add_co_u32 v6, s0, v6, s8
	v_add_co_ci_u32_e64 v7, s0, s9, v7, s0
	v_cmp_ne_u32_e64 s0, 0, v2
	v_and_b32_e32 v13, 7, v10
	v_and_b32_e32 v12, 0xffff, v23
	global_store_dword v[6:7], v4, off
	v_sub_nc_u32_e32 v4, 0x3f1, v16
	v_cndmask_b32_e64 v2, 0, 1, s0
	v_cmp_lt_i32_e64 s0, 5, v13
	v_cmp_eq_u32_e64 s1, 3, v13
	v_lshl_or_b32 v12, v11, 16, v12
	v_med3_i32 v13, v4, 0, 13
	v_and_or_b32 v2, 0xffe, v14, v2
	v_mul_f64 v[8:9], v[8:9], s[4:5]
	v_lshrrev_b32_e32 v10, 2, v10
	v_mul_f16_sdwa v4, v39, v5 dst_sel:DWORD dst_unused:UNUSED_PAD src0_sel:WORD_1 src1_sel:DWORD
	s_or_b32 s0, s1, s0
	v_or_b32_e32 v11, 0x1000, v2
	v_add_co_ci_u32_e64 v10, s0, 0, v10, s0
	v_fma_f16 v17, v39, v18, -v4
	v_lshrrev_b32_e32 v14, v13, v11
	v_add_co_u32 v4, s0, v6, s10
	v_add_co_ci_u32_e64 v5, s0, s11, v7, s0
	v_lshlrev_b32_e32 v13, v13, v14
	v_cmp_gt_i32_e64 s0, 31, v15
	v_cvt_f32_f16_e32 v6, v17
	ds_read_b32 v17, v36 offset:2816
	v_cndmask_b32_e64 v10, 0x7c00, v10, s0
	v_cmp_ne_u32_e64 s0, v13, v11
	v_and_or_b32 v8, 0x1ff, v9, v8
	v_add_nc_u32_e32 v13, 0xfffffc10, v16
	v_cvt_f64_f32_e32 v[6:7], v6
	v_lshrrev_b32_e32 v16, 8, v9
	v_cndmask_b32_e64 v11, 0, 1, s0
	v_cmp_ne_u32_e64 s0, 0, v0
	v_bfe_u32 v18, v9, 20, 11
	v_or_b32_e32 v11, v14, v11
	v_cndmask_b32_e64 v0, 0, 1, s0
	v_cmp_ne_u32_e64 s0, 0, v8
	v_lshl_or_b32 v14, v13, 12, v2
	v_lshl_or_b32 v0, v0, 9, 0x7c00
	v_cndmask_b32_e64 v8, 0, 1, s0
	v_cmp_gt_i32_e64 s0, 1, v13
	v_and_or_b32 v8, 0xffe, v16, v8
	ds_read_b32 v16, v36 offset:6688
	v_cndmask_b32_e64 v11, v14, v11, s0
	v_sub_nc_u32_e32 v14, 0x3f1, v18
	v_cmp_eq_u32_e64 s0, 0x40f, v15
	v_or_b32_e32 v25, 0x1000, v8
	s_waitcnt lgkmcnt(1)
	v_lshrrev_b32_e32 v23, 16, v17
	v_and_b32_e32 v24, 7, v11
	v_med3_i32 v14, v14, 0, 13
	v_cndmask_b32_e64 v0, v10, v0, s0
	v_mul_f64 v[6:7], v[6:7], s[4:5]
	v_mul_f16_sdwa v26, v38, v23 dst_sel:DWORD dst_unused:UNUSED_PAD src0_sel:WORD_1 src1_sel:DWORD
	v_cmp_lt_i32_e64 s0, 5, v24
	v_lshrrev_b32_e32 v10, v14, v25
	v_cmp_eq_u32_e64 s1, 3, v24
	v_and_or_b32 v15, 0x8000, v1, v0
	v_lshrrev_b32_e32 v0, 2, v11
	v_fmac_f16_e32 v26, v38, v17
	v_lshlrev_b32_e32 v1, v14, v10
	s_or_b32 s0, s1, s0
	v_add_nc_u32_e32 v18, 0xfffffc10, v18
	v_add_co_ci_u32_e64 v14, s0, 0, v0, s0
	v_cmp_ne_u32_e64 s0, v1, v25
	v_cvt_f32_f16_e32 v11, v26
	v_cndmask_b32_e64 v24, 0, 1, s0
	v_cmp_ne_u32_e64 s0, 0, v2
	v_cvt_f64_f32_e32 v[0:1], v11
	v_lshl_or_b32 v11, v18, 12, v8
	v_and_or_b32 v6, 0x1ff, v7, v6
	v_or_b32_e32 v10, v10, v24
	v_cndmask_b32_e64 v2, 0, 1, s0
	v_cmp_gt_i32_e64 s0, 31, v13
	v_bfe_u32 v24, v7, 20, 11
	v_lshl_or_b32 v2, v2, 9, 0x7c00
	v_cndmask_b32_e64 v14, 0x7c00, v14, s0
	v_cmp_gt_i32_e64 s0, 1, v18
	v_cndmask_b32_e64 v10, v11, v10, s0
	v_cmp_ne_u32_e64 s0, 0, v6
	v_lshrrev_b32_e32 v11, 8, v7
	v_and_b32_e32 v25, 7, v10
	v_cndmask_b32_e64 v6, 0, 1, s0
	v_cmp_eq_u32_e64 s0, 0x40f, v13
	v_mul_f64 v[0:1], v[0:1], s[4:5]
	v_cmp_eq_u32_e64 s1, 3, v25
	v_and_or_b32 v6, 0xffe, v11, v6
	v_cndmask_b32_e64 v2, v14, v2, s0
	v_sub_nc_u32_e32 v11, 0x3f1, v24
	v_cmp_lt_i32_e64 s0, 5, v25
	v_or_b32_e32 v13, 0x1000, v6
	v_and_or_b32 v2, 0x8000, v3, v2
	v_lshrrev_b32_e32 v3, 2, v10
	v_med3_i32 v11, v11, 0, 13
	s_or_b32 s0, s1, s0
	v_and_b32_e32 v10, 0xffff, v15
	v_add_co_ci_u32_e64 v3, s0, 0, v3, s0
	v_lshrrev_b32_e32 v14, v11, v13
	v_cmp_ne_u32_e64 s0, 0, v8
	v_lshl_or_b32 v15, v2, 16, v10
	v_mul_f16_sdwa v10, v38, v17 dst_sel:DWORD dst_unused:UNUSED_PAD src0_sel:WORD_1 src1_sel:DWORD
	v_lshlrev_b32_e32 v2, v11, v14
	v_cndmask_b32_e64 v8, 0, 1, s0
	v_cmp_gt_i32_e64 s0, 31, v18
	v_and_or_b32 v0, 0x1ff, v1, v0
	v_fma_f16 v10, v38, v23, -v10
	v_bfe_u32 v17, v1, 20, 11
	v_lshl_or_b32 v8, v8, 9, 0x7c00
	v_cndmask_b32_e64 v3, 0x7c00, v3, s0
	v_cmp_ne_u32_e64 s0, v2, v13
	v_add_nc_u32_e32 v13, 0xfffffc10, v24
	v_cndmask_b32_e64 v2, 0, 1, s0
	v_cmp_eq_u32_e64 s0, 0x40f, v18
	s_waitcnt lgkmcnt(0)
	v_lshrrev_b32_e32 v18, 16, v16
	v_cndmask_b32_e64 v11, v3, v8, s0
	v_cmp_ne_u32_e64 s0, 0, v0
	v_or_b32_e32 v8, v14, v2
	v_cvt_f32_f16_e32 v2, v10
	v_lshl_or_b32 v14, v13, 12, v6
	v_lshrrev_b32_e32 v10, 8, v1
	v_cndmask_b32_e64 v0, 0, 1, s0
	v_cmp_gt_i32_e64 s0, 1, v13
	v_cvt_f64_f32_e32 v[2:3], v2
	v_mul_f16_sdwa v26, v37, v18 dst_sel:DWORD dst_unused:UNUSED_PAD src0_sel:WORD_1 src1_sel:DWORD
	v_lshrrev_b32_e32 v1, 16, v1
	v_and_or_b32 v0, 0xffe, v10, v0
	v_cndmask_b32_e64 v14, v14, v8, s0
	v_sub_nc_u32_e32 v8, 0x3f1, v17
	v_lshrrev_b32_e32 v10, 16, v9
	v_fmac_f16_e32 v26, v37, v16
	v_or_b32_e32 v24, 0x1000, v0
	v_and_b32_e32 v23, 7, v14
	v_med3_i32 v25, v8, 0, 13
	v_add_co_u32 v8, s0, v4, s8
	v_add_co_ci_u32_e64 v9, s0, s9, v5, s0
	v_lshrrev_b32_e32 v28, v25, v24
	v_cmp_lt_i32_e64 s0, 5, v23
	v_cmp_eq_u32_e64 s1, 3, v23
	v_and_or_b32 v27, 0x8000, v10, v11
	v_lshrrev_b32_e32 v10, 2, v14
	v_lshlrev_b32_e32 v14, v25, v28
	v_cvt_f32_f16_e32 v11, v26
	s_or_b32 s0, s1, s0
	v_mul_f64 v[2:3], v[2:3], s[4:5]
	v_add_co_ci_u32_e64 v23, s0, 0, v10, s0
	v_cmp_ne_u32_e64 s0, v14, v24
	v_cvt_f64_f32_e32 v[10:11], v11
	v_add_nc_u32_e32 v17, 0xfffffc10, v17
	v_mul_f16_sdwa v16, v37, v16 dst_sel:DWORD dst_unused:UNUSED_PAD src0_sel:WORD_1 src1_sel:DWORD
	v_cndmask_b32_e64 v14, 0, 1, s0
	v_cmp_ne_u32_e64 s0, 0, v6
	v_lshl_or_b32 v24, v17, 12, v0
	v_fma_f16 v16, v37, v18, -v16
	v_or_b32_e32 v14, v28, v14
	v_cndmask_b32_e64 v6, 0, 1, s0
	v_cmp_gt_i32_e64 s0, 31, v13
	v_cvt_f32_f16_e32 v16, v16
	v_lshl_or_b32 v6, v6, 9, 0x7c00
	v_cndmask_b32_e64 v18, 0x7c00, v23, s0
	v_cmp_gt_i32_e64 s0, 1, v17
	v_and_or_b32 v2, 0x1ff, v3, v2
	v_lshrrev_b32_e32 v23, 8, v3
	v_cndmask_b32_e64 v14, v24, v14, s0
	v_cmp_eq_u32_e64 s0, 0x40f, v13
	v_mul_f64 v[10:11], v[10:11], s[4:5]
	v_bfe_u32 v24, v3, 20, 11
	v_lshrrev_b32_e32 v3, 16, v3
	v_cndmask_b32_e64 v13, v18, v6, s0
	v_lshrrev_b32_e32 v18, 16, v7
	v_cvt_f64_f32_e32 v[6:7], v16
	v_cmp_ne_u32_e64 s0, 0, v2
	v_and_b32_e32 v16, 7, v14
	v_lshrrev_b32_e32 v14, 2, v14
	v_and_or_b32 v13, 0x8000, v18, v13
	v_and_b32_e32 v18, 0xffff, v27
	v_cndmask_b32_e64 v2, 0, 1, s0
	v_cmp_lt_i32_e64 s0, 5, v16
	v_cmp_eq_u32_e64 s1, 3, v16
	v_lshl_or_b32 v13, v13, 16, v18
	v_and_or_b32 v2, 0xffe, v23, v2
	v_sub_nc_u32_e32 v23, 0x3f1, v24
	s_or_b32 s0, s1, s0
	v_add_co_ci_u32_e64 v14, s0, 0, v14, s0
	v_or_b32_e32 v16, 0x1000, v2
	v_med3_i32 v18, v23, 0, 13
	v_cmp_ne_u32_e64 s0, 0, v0
	v_and_or_b32 v10, 0x1ff, v11, v10
	v_lshrrev_b32_e32 v25, 8, v11
	v_mul_f64 v[6:7], v[6:7], s[4:5]
	v_lshrrev_b32_e32 v23, v18, v16
	v_cndmask_b32_e64 v0, 0, 1, s0
	v_cmp_gt_i32_e64 s0, 31, v17
	v_bfe_u32 v26, v11, 20, 11
	v_lshrrev_b32_e32 v11, 16, v11
	v_lshlrev_b32_e32 v18, v18, v23
	v_lshl_or_b32 v0, v0, 9, 0x7c00
	v_cndmask_b32_e64 v14, 0x7c00, v14, s0
	v_cmp_ne_u32_e64 s0, 0, v10
	v_cndmask_b32_e64 v10, 0, 1, s0
	v_cmp_ne_u32_e64 s0, v18, v16
	v_add_nc_u32_e32 v18, 0xfffffc10, v24
	v_sub_nc_u32_e32 v24, 0x3f1, v26
	v_and_or_b32 v10, 0xffe, v25, v10
	v_cndmask_b32_e64 v16, 0, 1, s0
	v_cmp_eq_u32_e64 s0, 0x40f, v17
	v_and_or_b32 v6, 0x1ff, v7, v6
	v_bfe_u32 v25, v7, 20, 11
	v_or_b32_e32 v17, 0x1000, v10
	v_cndmask_b32_e64 v0, v14, v0, s0
	v_or_b32_e32 v14, v23, v16
	v_lshl_or_b32 v16, v18, 12, v2
	v_med3_i32 v23, v24, 0, 13
	v_cmp_gt_i32_e64 s0, 1, v18
	v_lshrrev_b32_e32 v24, 8, v7
	v_and_or_b32 v0, 0x8000, v1, v0
	v_cndmask_b32_e64 v14, v16, v14, s0
	v_lshrrev_b32_e32 v16, v23, v17
	v_cmp_ne_u32_e64 s0, 0, v6
	v_and_b32_e32 v0, 0xffff, v0
	v_and_b32_e32 v27, 7, v14
	v_lshlrev_b32_e32 v23, v23, v16
	v_cndmask_b32_e64 v6, 0, 1, s0
	v_lshrrev_b32_e32 v14, 2, v14
	v_cmp_lt_i32_e64 s0, 5, v27
	v_cmp_ne_u32_e64 s1, v23, v17
	v_and_or_b32 v1, 0xffe, v24, v6
	v_sub_nc_u32_e32 v6, 0x3f1, v25
	v_add_nc_u32_e32 v24, 0xfffffc10, v26
	v_cndmask_b32_e64 v17, 0, 1, s1
	v_cmp_eq_u32_e64 s1, 3, v27
	v_or_b32_e32 v23, 0x1000, v1
	v_med3_i32 v6, v6, 0, 13
	v_lshl_or_b32 v26, v24, 12, v10
	v_or_b32_e32 v16, v16, v17
	s_or_b32 s0, s1, s0
	v_add_co_ci_u32_e64 v14, s0, 0, v14, s0
	v_lshrrev_b32_e32 v17, v6, v23
	v_cmp_gt_i32_e64 s0, 1, v24
	v_lshlrev_b32_e32 v6, v6, v17
	v_cndmask_b32_e64 v16, v26, v16, s0
	v_cmp_ne_u32_e64 s0, 0, v2
	v_cndmask_b32_e64 v2, 0, 1, s0
	v_cmp_ne_u32_e64 s0, v6, v23
	v_add_nc_u32_e32 v23, 0xfffffc10, v25
	v_and_b32_e32 v25, 7, v16
	v_lshl_or_b32 v2, v2, 9, 0x7c00
	v_cndmask_b32_e64 v6, 0, 1, s0
	v_cmp_gt_i32_e64 s0, 31, v18
	v_cmp_gt_i32_e64 s2, 1, v23
	v_cmp_eq_u32_e64 s1, 3, v25
	v_or_b32_e32 v6, v17, v6
	v_lshl_or_b32 v17, v23, 12, v1
	v_cndmask_b32_e64 v14, 0x7c00, v14, s0
	v_cmp_lt_i32_e64 s0, 5, v25
	v_cndmask_b32_e64 v6, v17, v6, s2
	v_cmp_eq_u32_e64 s2, 0x40f, v18
	s_or_b32 s0, s1, s0
	v_cndmask_b32_e64 v2, v14, v2, s2
	v_lshrrev_b32_e32 v14, 2, v16
	v_and_b32_e32 v16, 7, v6
	v_lshrrev_b32_e32 v6, 2, v6
	v_cmp_gt_i32_e64 s2, 31, v24
	v_add_co_ci_u32_e64 v14, s0, 0, v14, s0
	v_cmp_ne_u32_e64 s0, 0, v10
	v_cmp_eq_u32_e64 s1, 3, v16
	v_cndmask_b32_e64 v14, 0x7c00, v14, s2
	v_cndmask_b32_e64 v10, 0, 1, s0
	v_cmp_lt_i32_e64 s0, 5, v16
	v_lshl_or_b32 v10, v10, 9, 0x7c00
	s_or_b32 s0, s1, s0
	v_add_co_ci_u32_e64 v6, s0, 0, v6, s0
	v_cmp_ne_u32_e64 s0, 0, v1
	v_cndmask_b32_e64 v1, 0, 1, s0
	v_cmp_eq_u32_e64 s0, 0x40f, v24
	v_lshl_or_b32 v1, v1, 9, 0x7c00
	v_cndmask_b32_e64 v10, v14, v10, s0
	v_cmp_gt_i32_e64 s0, 31, v23
	v_and_or_b32 v14, 0x8000, v3, v2
	v_and_or_b32 v10, 0x8000, v11, v10
	v_cndmask_b32_e64 v6, 0x7c00, v6, s0
	v_cmp_eq_u32_e64 s0, 0x40f, v23
	v_lshl_or_b32 v11, v14, 16, v0
	v_cndmask_b32_e64 v1, v6, v1, s0
	v_lshrrev_b32_e32 v6, 16, v7
	v_add_co_u32 v2, s0, v8, s10
	v_add_co_ci_u32_e64 v3, s0, s11, v9, s0
	v_and_or_b32 v0, 0x8000, v6, v1
	v_and_b32_e32 v1, 0xffff, v10
	v_add_co_u32 v6, s0, v2, s8
	v_add_co_ci_u32_e64 v7, s0, s9, v3, s0
	v_lshl_or_b32 v10, v0, 16, v1
	v_add_co_u32 v0, s0, v6, s10
	v_add_co_ci_u32_e64 v1, s0, s11, v7, s0
	global_store_dword v[4:5], v12, off
	global_store_dword v[8:9], v15, off
	;; [unrolled: 1-line block ×5, first 2 shown]
	s_and_b32 exec_lo, exec_lo, vcc_lo
	s_cbranch_execz .LBB0_31
; %bb.30:
	s_clause 0x1
	global_load_dword v2, v[19:20], off offset:1472
	global_load_dword v4, v[21:22], off offset:1248
	ds_read_b32 v3, v36 offset:3520
	ds_read_b32 v5, v36 offset:7392
	s_waitcnt lgkmcnt(1)
	v_lshrrev_b32_e32 v6, 16, v3
	s_waitcnt lgkmcnt(0)
	v_lshrrev_b32_e32 v8, 16, v5
	s_waitcnt vmcnt(1)
	v_mul_f16_sdwa v7, v6, v2 dst_sel:DWORD dst_unused:UNUSED_PAD src0_sel:DWORD src1_sel:WORD_1
	v_mul_f16_sdwa v9, v3, v2 dst_sel:DWORD dst_unused:UNUSED_PAD src0_sel:DWORD src1_sel:WORD_1
	s_waitcnt vmcnt(0)
	v_mul_f16_sdwa v10, v8, v4 dst_sel:DWORD dst_unused:UNUSED_PAD src0_sel:DWORD src1_sel:WORD_1
	v_fmac_f16_e32 v7, v3, v2
	v_fma_f16 v2, v2, v6, -v9
	v_mul_f16_sdwa v6, v5, v4 dst_sel:DWORD dst_unused:UNUSED_PAD src0_sel:DWORD src1_sel:WORD_1
	v_fmac_f16_e32 v10, v5, v4
	v_cvt_f32_f16_e32 v3, v7
	v_cvt_f32_f16_e32 v5, v2
	v_fma_f16 v6, v4, v8, -v6
	v_cvt_f32_f16_e32 v7, v10
	v_cvt_f64_f32_e32 v[2:3], v3
	v_cvt_f64_f32_e32 v[4:5], v5
	v_cvt_f32_f16_e32 v8, v6
	v_cvt_f64_f32_e32 v[6:7], v7
	v_cvt_f64_f32_e32 v[8:9], v8
	v_mul_f64 v[2:3], v[2:3], s[4:5]
	v_mul_f64 v[4:5], v[4:5], s[4:5]
	;; [unrolled: 1-line block ×4, first 2 shown]
	v_and_or_b32 v2, 0x1ff, v3, v2
	v_and_or_b32 v4, 0x1ff, v5, v4
	v_lshrrev_b32_e32 v10, 8, v3
	v_and_or_b32 v6, 0x1ff, v7, v6
	v_bfe_u32 v11, v3, 20, 11
	v_cmp_ne_u32_e32 vcc_lo, 0, v2
	v_lshrrev_b32_e32 v12, 8, v5
	v_and_or_b32 v8, 0x1ff, v9, v8
	v_bfe_u32 v13, v5, 20, 11
	v_lshrrev_b32_e32 v14, 8, v7
	v_cndmask_b32_e64 v2, 0, 1, vcc_lo
	v_cmp_ne_u32_e32 vcc_lo, 0, v4
	v_bfe_u32 v15, v7, 20, 11
	v_bfe_u32 v17, v9, 20, 11
	v_sub_nc_u32_e32 v18, 0x3f1, v11
	v_and_or_b32 v2, 0xffe, v10, v2
	v_cndmask_b32_e64 v4, 0, 1, vcc_lo
	v_cmp_ne_u32_e32 vcc_lo, 0, v6
	v_add_nc_u32_e32 v11, 0xfffffc10, v11
	v_sub_nc_u32_e32 v19, 0x3f1, v13
	v_lshrrev_b32_e32 v16, 8, v9
	v_and_or_b32 v4, 0xffe, v12, v4
	v_cndmask_b32_e64 v6, 0, 1, vcc_lo
	v_cmp_ne_u32_e32 vcc_lo, 0, v8
	v_add_nc_u32_e32 v13, 0xfffffc10, v13
	v_sub_nc_u32_e32 v20, 0x3f1, v15
	v_sub_nc_u32_e32 v21, 0x3f1, v17
	v_med3_i32 v10, v18, 0, 13
	v_cndmask_b32_e64 v8, 0, 1, vcc_lo
	v_cmp_ne_u32_e32 vcc_lo, 0, v2
	v_med3_i32 v12, v19, 0, 13
	v_and_or_b32 v6, 0xffe, v14, v6
	v_or_b32_e32 v18, 0x1000, v2
	v_lshl_or_b32 v19, v11, 12, v2
	v_cndmask_b32_e64 v2, 0, 1, vcc_lo
	v_cmp_ne_u32_e32 vcc_lo, 0, v4
	v_add_nc_u32_e32 v15, 0xfffffc10, v15
	v_med3_i32 v14, v20, 0, 13
	v_and_or_b32 v8, 0xffe, v16, v8
	v_med3_i32 v16, v21, 0, 13
	v_or_b32_e32 v20, 0x1000, v4
	v_lshl_or_b32 v21, v13, 12, v4
	v_cndmask_b32_e64 v4, 0, 1, vcc_lo
	v_cmp_ne_u32_e32 vcc_lo, 0, v6
	v_lshrrev_b32_e32 v26, v10, v18
	v_add_nc_u32_e32 v17, 0xfffffc10, v17
	v_or_b32_e32 v22, 0x1000, v6
	v_lshl_or_b32 v23, v15, 12, v6
	v_cndmask_b32_e64 v6, 0, 1, vcc_lo
	v_cmp_ne_u32_e32 vcc_lo, 0, v8
	v_lshrrev_b32_e32 v27, v12, v20
	v_lshlrev_b32_e32 v10, v10, v26
	v_or_b32_e32 v24, 0x1000, v8
	v_lshl_or_b32 v25, v17, 12, v8
	v_cndmask_b32_e64 v8, 0, 1, vcc_lo
	v_lshrrev_b32_e32 v28, v14, v22
	v_lshlrev_b32_e32 v12, v12, v27
	v_cmp_ne_u32_e32 vcc_lo, v10, v18
	v_lshrrev_b32_e32 v29, v16, v24
	v_lshl_or_b32 v2, v2, 9, 0x7c00
	v_lshlrev_b32_e32 v14, v14, v28
	v_lshl_or_b32 v6, v6, 9, 0x7c00
	v_cndmask_b32_e64 v10, 0, 1, vcc_lo
	v_cmp_ne_u32_e32 vcc_lo, v12, v20
	v_lshlrev_b32_e32 v16, v16, v29
	v_lshl_or_b32 v4, v4, 9, 0x7c00
	v_lshrrev_b32_e32 v3, 16, v3
	v_or_b32_e32 v10, v26, v10
	v_cndmask_b32_e64 v12, 0, 1, vcc_lo
	v_cmp_ne_u32_e32 vcc_lo, v14, v22
	v_lshrrev_b32_e32 v7, 16, v7
	v_lshl_or_b32 v8, v8, 9, 0x7c00
	v_lshrrev_b32_e32 v5, 16, v5
	v_or_b32_e32 v12, v27, v12
	v_cndmask_b32_e64 v14, 0, 1, vcc_lo
	v_cmp_ne_u32_e32 vcc_lo, v16, v24
	v_lshrrev_b32_e32 v9, 16, v9
	v_or_b32_e32 v14, v28, v14
	v_cndmask_b32_e64 v16, 0, 1, vcc_lo
	v_cmp_gt_i32_e32 vcc_lo, 1, v11
	v_or_b32_e32 v16, v29, v16
	v_cndmask_b32_e32 v10, v19, v10, vcc_lo
	v_cmp_gt_i32_e32 vcc_lo, 1, v13
	v_and_b32_e32 v18, 7, v10
	v_cndmask_b32_e32 v12, v21, v12, vcc_lo
	v_cmp_gt_i32_e32 vcc_lo, 1, v15
	v_lshrrev_b32_e32 v10, 2, v10
	v_cmp_eq_u32_e64 s0, 3, v18
	v_and_b32_e32 v19, 7, v12
	v_cndmask_b32_e32 v14, v23, v14, vcc_lo
	v_cmp_gt_i32_e32 vcc_lo, 1, v17
	v_lshrrev_b32_e32 v12, 2, v12
	v_cmp_lt_i32_e64 s1, 5, v19
	v_and_b32_e32 v20, 7, v14
	v_cndmask_b32_e32 v16, v25, v16, vcc_lo
	v_cmp_lt_i32_e32 vcc_lo, 5, v18
	v_cmp_eq_u32_e64 s2, 3, v19
	v_lshrrev_b32_e32 v14, 2, v14
	v_cmp_lt_i32_e64 s3, 5, v20
	v_and_b32_e32 v21, 7, v16
	s_or_b32 vcc_lo, s0, vcc_lo
	v_cmp_eq_u32_e64 s4, 3, v20
	v_add_co_ci_u32_e32 v10, vcc_lo, 0, v10, vcc_lo
	s_or_b32 vcc_lo, s2, s1
	v_cmp_lt_i32_e64 s5, 5, v21
	v_cmp_eq_u32_e64 s6, 3, v21
	v_add_co_ci_u32_e32 v12, vcc_lo, 0, v12, vcc_lo
	v_lshrrev_b32_e32 v16, 2, v16
	s_or_b32 vcc_lo, s4, s3
	v_add_co_ci_u32_e32 v14, vcc_lo, 0, v14, vcc_lo
	s_or_b32 vcc_lo, s6, s5
	v_add_co_ci_u32_e32 v16, vcc_lo, 0, v16, vcc_lo
	v_cmp_gt_i32_e32 vcc_lo, 31, v11
	v_cndmask_b32_e32 v10, 0x7c00, v10, vcc_lo
	v_cmp_gt_i32_e32 vcc_lo, 31, v13
	v_cndmask_b32_e32 v12, 0x7c00, v12, vcc_lo
	;; [unrolled: 2-line block ×4, first 2 shown]
	v_cmp_eq_u32_e32 vcc_lo, 0x40f, v11
	v_cndmask_b32_e32 v2, v10, v2, vcc_lo
	v_cmp_eq_u32_e32 vcc_lo, 0x40f, v15
	v_and_or_b32 v2, 0x8000, v3, v2
	v_cndmask_b32_e32 v6, v14, v6, vcc_lo
	v_cmp_eq_u32_e32 vcc_lo, 0x40f, v13
	v_and_or_b32 v3, 0x8000, v7, v6
	v_cndmask_b32_e32 v4, v12, v4, vcc_lo
	v_cmp_eq_u32_e32 vcc_lo, 0x40f, v17
	v_and_b32_e32 v6, 0xffff, v2
	v_and_b32_e32 v7, 0xffff, v3
	v_and_or_b32 v4, 0x8000, v5, v4
	v_cndmask_b32_e32 v8, v16, v8, vcc_lo
	v_add_co_u32 v0, vcc_lo, v0, s8
	v_add_co_ci_u32_e32 v1, vcc_lo, s9, v1, vcc_lo
	v_and_or_b32 v5, 0x8000, v9, v8
	v_add_co_u32 v2, vcc_lo, v0, s10
	v_lshl_or_b32 v4, v4, 16, v6
	v_add_co_ci_u32_e32 v3, vcc_lo, s11, v1, vcc_lo
	v_lshl_or_b32 v5, v5, 16, v7
	global_store_dword v[0:1], v4, off
	global_store_dword v[2:3], v5, off
.LBB0_31:
	s_endpgm
	.section	.rodata,"a",@progbits
	.p2align	6, 0x0
	.amdhsa_kernel bluestein_single_fwd_len1936_dim1_half_op_CI_CI
		.amdhsa_group_segment_fixed_size 7744
		.amdhsa_private_segment_fixed_size 0
		.amdhsa_kernarg_size 104
		.amdhsa_user_sgpr_count 6
		.amdhsa_user_sgpr_private_segment_buffer 1
		.amdhsa_user_sgpr_dispatch_ptr 0
		.amdhsa_user_sgpr_queue_ptr 0
		.amdhsa_user_sgpr_kernarg_segment_ptr 1
		.amdhsa_user_sgpr_dispatch_id 0
		.amdhsa_user_sgpr_flat_scratch_init 0
		.amdhsa_user_sgpr_private_segment_size 0
		.amdhsa_wavefront_size32 1
		.amdhsa_uses_dynamic_stack 0
		.amdhsa_system_sgpr_private_segment_wavefront_offset 0
		.amdhsa_system_sgpr_workgroup_id_x 1
		.amdhsa_system_sgpr_workgroup_id_y 0
		.amdhsa_system_sgpr_workgroup_id_z 0
		.amdhsa_system_sgpr_workgroup_info 0
		.amdhsa_system_vgpr_workitem_id 0
		.amdhsa_next_free_vgpr 185
		.amdhsa_next_free_sgpr 16
		.amdhsa_reserve_vcc 1
		.amdhsa_reserve_flat_scratch 0
		.amdhsa_float_round_mode_32 0
		.amdhsa_float_round_mode_16_64 0
		.amdhsa_float_denorm_mode_32 3
		.amdhsa_float_denorm_mode_16_64 3
		.amdhsa_dx10_clamp 1
		.amdhsa_ieee_mode 1
		.amdhsa_fp16_overflow 0
		.amdhsa_workgroup_processor_mode 1
		.amdhsa_memory_ordered 1
		.amdhsa_forward_progress 0
		.amdhsa_shared_vgpr_count 0
		.amdhsa_exception_fp_ieee_invalid_op 0
		.amdhsa_exception_fp_denorm_src 0
		.amdhsa_exception_fp_ieee_div_zero 0
		.amdhsa_exception_fp_ieee_overflow 0
		.amdhsa_exception_fp_ieee_underflow 0
		.amdhsa_exception_fp_ieee_inexact 0
		.amdhsa_exception_int_div_zero 0
	.end_amdhsa_kernel
	.text
.Lfunc_end0:
	.size	bluestein_single_fwd_len1936_dim1_half_op_CI_CI, .Lfunc_end0-bluestein_single_fwd_len1936_dim1_half_op_CI_CI
                                        ; -- End function
	.section	.AMDGPU.csdata,"",@progbits
; Kernel info:
; codeLenInByte = 24096
; NumSgprs: 18
; NumVgprs: 185
; ScratchSize: 0
; MemoryBound: 0
; FloatMode: 240
; IeeeMode: 1
; LDSByteSize: 7744 bytes/workgroup (compile time only)
; SGPRBlocks: 2
; VGPRBlocks: 23
; NumSGPRsForWavesPerEU: 18
; NumVGPRsForWavesPerEU: 185
; Occupancy: 5
; WaveLimiterHint : 1
; COMPUTE_PGM_RSRC2:SCRATCH_EN: 0
; COMPUTE_PGM_RSRC2:USER_SGPR: 6
; COMPUTE_PGM_RSRC2:TRAP_HANDLER: 0
; COMPUTE_PGM_RSRC2:TGID_X_EN: 1
; COMPUTE_PGM_RSRC2:TGID_Y_EN: 0
; COMPUTE_PGM_RSRC2:TGID_Z_EN: 0
; COMPUTE_PGM_RSRC2:TIDIG_COMP_CNT: 0
	.text
	.p2alignl 6, 3214868480
	.fill 48, 4, 3214868480
	.type	__hip_cuid_e79325f37d936a00,@object ; @__hip_cuid_e79325f37d936a00
	.section	.bss,"aw",@nobits
	.globl	__hip_cuid_e79325f37d936a00
__hip_cuid_e79325f37d936a00:
	.byte	0                               ; 0x0
	.size	__hip_cuid_e79325f37d936a00, 1

	.ident	"AMD clang version 19.0.0git (https://github.com/RadeonOpenCompute/llvm-project roc-6.4.0 25133 c7fe45cf4b819c5991fe208aaa96edf142730f1d)"
	.section	".note.GNU-stack","",@progbits
	.addrsig
	.addrsig_sym __hip_cuid_e79325f37d936a00
	.amdgpu_metadata
---
amdhsa.kernels:
  - .args:
      - .actual_access:  read_only
        .address_space:  global
        .offset:         0
        .size:           8
        .value_kind:     global_buffer
      - .actual_access:  read_only
        .address_space:  global
        .offset:         8
        .size:           8
        .value_kind:     global_buffer
      - .actual_access:  read_only
        .address_space:  global
        .offset:         16
        .size:           8
        .value_kind:     global_buffer
      - .actual_access:  read_only
        .address_space:  global
        .offset:         24
        .size:           8
        .value_kind:     global_buffer
      - .actual_access:  read_only
        .address_space:  global
        .offset:         32
        .size:           8
        .value_kind:     global_buffer
      - .offset:         40
        .size:           8
        .value_kind:     by_value
      - .address_space:  global
        .offset:         48
        .size:           8
        .value_kind:     global_buffer
      - .address_space:  global
        .offset:         56
        .size:           8
        .value_kind:     global_buffer
      - .address_space:  global
        .offset:         64
        .size:           8
        .value_kind:     global_buffer
      - .address_space:  global
        .offset:         72
        .size:           8
        .value_kind:     global_buffer
      - .offset:         80
        .size:           4
        .value_kind:     by_value
      - .address_space:  global
        .offset:         88
        .size:           8
        .value_kind:     global_buffer
      - .address_space:  global
        .offset:         96
        .size:           8
        .value_kind:     global_buffer
    .group_segment_fixed_size: 7744
    .kernarg_segment_align: 8
    .kernarg_segment_size: 104
    .language:       OpenCL C
    .language_version:
      - 2
      - 0
    .max_flat_workgroup_size: 176
    .name:           bluestein_single_fwd_len1936_dim1_half_op_CI_CI
    .private_segment_fixed_size: 0
    .sgpr_count:     18
    .sgpr_spill_count: 0
    .symbol:         bluestein_single_fwd_len1936_dim1_half_op_CI_CI.kd
    .uniform_work_group_size: 1
    .uses_dynamic_stack: false
    .vgpr_count:     185
    .vgpr_spill_count: 0
    .wavefront_size: 32
    .workgroup_processor_mode: 1
amdhsa.target:   amdgcn-amd-amdhsa--gfx1030
amdhsa.version:
  - 1
  - 2
...

	.end_amdgpu_metadata
